;; amdgpu-corpus repo=ROCm/aiter kind=harvested arch=n/a opt=n/a

/root/src/amdgpu-assembly/repos/ROCm__aiter/hsa/gfx942/fmoe/silu/fmoe_bf16_pertokenInt8_g1u0_atm_opt_silu_1tg_ps_32x512.co:	file format elf64-amdgpu

Disassembly of section .text:

0000000000002e00 <_ZN5aiter54fmoe_bf16_pertokenInt8_g1u0_atm_opt_silu_1tg_ps_32x512E>:
	v_lshrrev_b32_e32 v1, 10, v0                               // 000000002E00: 2002008A
	v_lshrrev_b32_e32 v2, 10, v1                               // 000000002E04: 2004028A
	v_and_b32_e32 v2, 0x3ff, v2                                // 000000002E08: 260404FF 000003FF
	v_and_b32_e32 v1, 0x3ff, v1                                // 000000002E10: 260202FF 000003FF
	v_and_b32_e32 v0, 0x3ff, v0                                // 000000002E18: 260000FF 000003FF
	v_lshrrev_b32_e32 v3, 6, v0                                // 000000002E20: 20060086
	v_and_b32_e32 v0, 63, v0                                   // 000000002E24: 260000BF
	s_mov_b32 s2, s2                                           // 000000002E28: BE820002
	s_mov_b32 s3, s3                                           // 000000002E2C: BE830003
	s_mov_b32 s4, s4                                           // 000000002E30: BE840004
	s_mov_b32 s99, s2                                          // 000000002E34: BEE30002
	v_readfirstlane_b32 s5, v3                                 // 000000002E38: 7E0A0503
	s_and_b32 s1, s1, 0xffff                                   // 000000002E3C: 8601FF01 0000FFFF
	s_mov_b32 s96, 0                                           // 000000002E44: BEE00080
	s_mov_b32 s97, 0                                           // 000000002E48: BEE10080
	s_mov_b32 s100, 0                                          // 000000002E4C: BEE40080
	s_load_dword s96, s[0:1], 0x1a0                            // 000000002E50: C0021800 000001A0
	s_load_dword s97, s[0:1], 0x1b0                            // 000000002E58: C0021840 000001B0
	s_waitcnt lgkmcnt(0)                                       // 000000002E60: BF8CC07F
	s_cmp_eq_u32 s96, 0                                        // 000000002E64: BF068060
	s_cbranch_scc1 label_005C                                  // 000000002E68: BF850041
	v_cvt_f32_u32_e32 v54, s97                                 // 000000002E6C: 7E6C0C61
	s_sub_i32 s60, 0, s97                                      // 000000002E70: 81BC6180
	v_rcp_iflag_f32_e32 v54, v54                               // 000000002E74: 7E6C4736
	s_nop 0                                                    // 000000002E78: BF800000
	v_mul_f32_e32 v54, 0x4f7ffffe, v54                         // 000000002E7C: 0A6C6CFF 4F7FFFFE
	v_cvt_u32_f32_e32 v54, v54                                 // 000000002E84: 7E6C0F36
	v_mul_lo_u32 v55, s60, v54                                 // 000000002E88: D2850037 00026C3C
	v_mul_hi_u32 v55, v54, v55                                 // 000000002E90: D2860037 00026F36
	v_add_u32_e32 v54, v54, v55                                // 000000002E98: 686C6F36
	v_mul_hi_u32 v54, s96, v54                                 // 000000002E9C: D2860036 00026C60
	v_mul_lo_u32 v55, v54, s97                                 // 000000002EA4: D2850037 0000C336
	v_sub_u32_e32 v57, s96, v55                                // 000000002EAC: 6A726E60
	v_add_u32_e32 v56, 1, v54                                  // 000000002EB0: 68706C81
	v_cmp_le_u32_e32 vcc, s97, v57                             // 000000002EB4: 7D967261
	v_subrev_u32_e32 v55, s97, v57                             // 000000002EB8: 6C6E7261
	s_nop 0                                                    // 000000002EBC: BF800000
	v_cndmask_b32_e32 v54, v54, v56, vcc                       // 000000002EC0: 006C7136
	v_cndmask_b32_e32 v57, v57, v55, vcc                       // 000000002EC4: 00726F39
	v_add_u32_e32 v55, 1, v54                                  // 000000002EC8: 686E6C81
	v_cmp_le_u32_e32 vcc, s97, v57                             // 000000002ECC: 7D967261
	s_nop 1                                                    // 000000002ED0: BF800001
	v_cndmask_b32_e32 v57, v54, v55, vcc                       // 000000002ED4: 00726F36
	s_nop 3                                                    // 000000002ED8: BF800003
	v_readfirstlane_b32 s98, v57                               // 000000002EDC: 7EC40539
	s_nop 3                                                    // 000000002EE0: BF800003

0000000000002ee4 <label_0039>:
	s_mov_b32 s4, 0                                            // 000000002EE4: BE840080
	v_cvt_f32_u32_e32 v54, s97                                 // 000000002EE8: 7E6C0C61
	s_sub_i32 s60, 0, s97                                      // 000000002EEC: 81BC6180
	v_rcp_iflag_f32_e32 v54, v54                               // 000000002EF0: 7E6C4736
	s_nop 0                                                    // 000000002EF4: BF800000
	v_mul_f32_e32 v54, 0x4f7ffffe, v54                         // 000000002EF8: 0A6C6CFF 4F7FFFFE
	v_cvt_u32_f32_e32 v54, v54                                 // 000000002F00: 7E6C0F36
	v_mul_lo_u32 v55, s60, v54                                 // 000000002F04: D2850037 00026C3C
	v_mul_hi_u32 v55, v54, v55                                 // 000000002F0C: D2860037 00026F36
	v_add_u32_e32 v54, v54, v55                                // 000000002F14: 686C6F36
	v_mul_hi_u32 v54, s99, v54                                 // 000000002F18: D2860036 00026C63
	v_mul_lo_u32 v55, v54, s97                                 // 000000002F20: D2850037 0000C336
	v_sub_u32_e32 v57, s99, v55                                // 000000002F28: 6A726E63
	v_add_u32_e32 v56, 1, v54                                  // 000000002F2C: 68706C81
	v_cmp_le_u32_e32 vcc, s97, v57                             // 000000002F30: 7D967261
	v_subrev_u32_e32 v55, s97, v57                             // 000000002F34: 6C6E7261
	s_nop 0                                                    // 000000002F38: BF800000
	v_cndmask_b32_e32 v54, v54, v56, vcc                       // 000000002F3C: 006C7136
	v_cndmask_b32_e32 v57, v57, v55, vcc                       // 000000002F40: 00726F39
	v_add_u32_e32 v55, 1, v54                                  // 000000002F44: 686E6C81
	v_cmp_le_u32_e32 vcc, s97, v57                             // 000000002F48: 7D967261
	s_nop 1                                                    // 000000002F4C: BF800001
	v_cndmask_b32_e32 v57, v54, v55, vcc                       // 000000002F50: 00726F36
	s_nop 3                                                    // 000000002F54: BF800003
	v_readfirstlane_b32 s3, v57                                // 000000002F58: 7E060539
	s_nop 3                                                    // 000000002F5C: BF800003
	s_mul_i32 s60, s3, s97                                     // 000000002F60: 923C6103
	s_sub_u32 s2, s99, s60                                     // 000000002F64: 80823C63
	s_mul_i32 s60, s98, s100                                   // 000000002F68: 923C6462
	s_add_i32 s3, s3, s60                                      // 000000002F6C: 81033C03

0000000000002f70 <label_005C>:
	s_and_b32 s1, s1, 0xffff                                   // 000000002F70: 8601FF01 0000FFFF
	s_load_dwordx2 s[8:9], s[0:1], 0x0                         // 000000002F78: C0060200 00000000
	s_load_dwordx2 s[20:21], s[0:1], 0x10                      // 000000002F80: C0060500 00000010
	s_load_dwordx2 s[24:25], s[0:1], 0x20                      // 000000002F88: C0060600 00000020
	s_load_dwordx2 s[50:51], s[0:1], 0x30                      // 000000002F90: C0060C80 00000030
	s_load_dwordx2 s[12:13], s[0:1], 0x40                      // 000000002F98: C0060300 00000040
	s_load_dwordx2 s[28:29], s[0:1], 0x50                      // 000000002FA0: C0060700 00000050
	s_load_dwordx2 s[32:33], s[0:1], 0x60                      // 000000002FA8: C0060800 00000060
	s_load_dwordx2 s[16:17], s[0:1], 0x70                      // 000000002FB0: C0060400 00000070
	s_load_dwordx2 s[36:37], s[0:1], 0x80                      // 000000002FB8: C0060900 00000080
	s_load_dwordx2 s[44:45], s[0:1], 0x90                      // 000000002FC0: C0060B00 00000090
	s_load_dwordx2 s[40:41], s[0:1], 0xa0                      // 000000002FC8: C0060A00 000000A0
	s_load_dwordx2 s[46:47], s[0:1], 0xb0                      // 000000002FD0: C0060B80 000000B0
	s_load_dword s64, s[0:1], 0xc0                             // 000000002FD8: C0021000 000000C0
	s_load_dword s65, s[0:1], 0xd0                             // 000000002FE0: C0021040 000000D0
	s_load_dword s67, s[0:1], 0xf0                             // 000000002FE8: C00210C0 000000F0
	s_load_dword s68, s[0:1], 0x100                            // 000000002FF0: C0021100 00000100
	s_load_dword s69, s[0:1], 0x110                            // 000000002FF8: C0021140 00000110
	s_load_dword s70, s[0:1], 0x120                            // 000000003000: C0021180 00000120
	s_load_dword s71, s[0:1], 0x130                            // 000000003008: C00211C0 00000130
	s_load_dword s72, s[0:1], 0x140                            // 000000003010: C0021200 00000140
	s_load_dword s73, s[0:1], 0x150                            // 000000003018: C0021240 00000150
	s_load_dword s74, s[0:1], 0x160                            // 000000003020: C0021280 00000160
	s_load_dword s75, s[0:1], 0x170                            // 000000003028: C00212C0 00000170
	s_load_dword s76, s[0:1], 0x180                            // 000000003030: C0021300 00000180
	s_load_dword s63, s[0:1], 0x190                            // 000000003038: C0020FC0 00000190
	s_mov_b32 s2, s2                                           // 000000003040: BE820002
	s_mov_b32 s3, s3                                           // 000000003044: BE830003
	s_mov_b32 s4, s4                                           // 000000003048: BE840004
	s_waitcnt lgkmcnt(0)                                       // 00000000304C: BF8CC07F
	s_and_b32 s51, s51, 0xffff                                 // 000000003050: 8633FF33 0000FFFF
	s_load_dword s66, s[50:51], 0x4                            // 000000003058: C0021099 00000004
	s_load_dword s50, s[50:51], 0x0                            // 000000003060: C0020C99 00000000
	s_waitcnt lgkmcnt(0)                                       // 000000003068: BF8CC07F
	s_and_b32 s45, s45, 0xffff                                 // 00000000306C: 862DFF2D 0000FFFF
	s_and_b32 s47, s47, 0xffff                                 // 000000003074: 862FFF2F 0000FFFF
	s_and_b32 s9, s9, 0xffff                                   // 00000000307C: 8609FF09 0000FFFF
	s_mul_i32 s60, s66, s68                                    // 000000003084: 923C4442
	s_mul_i32 s60, s63, s60                                    // 000000003088: 923C3C3F
	s_mul_i32 s61, s66, 4                                      // 00000000308C: 923D8442
	s_mul_i32 s61, s63, s61                                    // 000000003090: 923D3D3F
	s_mov_b32 s22, s60                                         // 000000003094: BE96003C
	s_mov_b32 s26, -16                                         // 000000003098: BE9A00D0
	s_mov_b32 s14, -16                                         // 00000000309C: BE8E00D0
	s_mov_b32 s42, -16                                         // 0000000030A0: BEAA00D0
	s_mov_b32 s30, s61                                         // 0000000030A4: BE9E003D
	s_mov_b32 s34, -16                                         // 0000000030A8: BEA200D0
	s_mov_b32 s38, -16                                         // 0000000030AC: BEA600D0
	s_mov_b32 s18, -16                                         // 0000000030B0: BE9200D0
	s_mov_b32 s23, 0x20000                                     // 0000000030B4: BE9700FF 00020000
	s_mov_b32 s27, 0x20000                                     // 0000000030BC: BE9B00FF 00020000
	s_mov_b32 s15, 0x20000                                     // 0000000030C4: BE8F00FF 00020000
	s_mov_b32 s43, 0x20000                                     // 0000000030CC: BEAB00FF 00020000
	s_mov_b32 s31, 0x20000                                     // 0000000030D4: BE9F00FF 00020000
	s_mov_b32 s35, 0x20000                                     // 0000000030DC: BEA300FF 00020000
	s_mov_b32 s39, 0x20000                                     // 0000000030E4: BEA700FF 00020000
	s_mov_b32 s19, 0x20000                                     // 0000000030EC: BE9300FF 00020000
	s_and_b32 s21, s21, 0xffff                                 // 0000000030F4: 8615FF15 0000FFFF
	s_and_b32 s25, s25, 0xffff                                 // 0000000030FC: 8619FF19 0000FFFF
	s_and_b32 s13, s13, 0xffff                                 // 000000003104: 860DFF0D 0000FFFF
	s_and_b32 s41, s41, 0xffff                                 // 00000000310C: 8629FF29 0000FFFF
	s_and_b32 s29, s29, 0xffff                                 // 000000003114: 861DFF1D 0000FFFF
	s_and_b32 s33, s33, 0xffff                                 // 00000000311C: 8621FF21 0000FFFF
	s_and_b32 s37, s37, 0xffff                                 // 000000003124: 8625FF25 0000FFFF
	s_and_b32 s17, s17, 0xffff                                 // 00000000312C: 8611FF11 0000FFFF
	s_or_b32 s21, s21, 0x40000                                 // 000000003134: 8715FF15 00040000
	s_or_b32 s25, s25, 0x40000                                 // 00000000313C: 8719FF19 00040000
	s_or_b32 s13, s13, 0x40000                                 // 000000003144: 870DFF0D 00040000
	s_or_b32 s41, s41, 0x40000                                 // 00000000314C: 8729FF29 00040000
	s_or_b32 s29, s29, 0x40000                                 // 000000003154: 871DFF1D 00040000
	s_or_b32 s33, s33, 0x40000                                 // 00000000315C: 8721FF21 00040000
	s_or_b32 s37, s37, 0x40000                                 // 000000003164: 8725FF25 00040000
	s_or_b32 s17, s17, 0x40000                                 // 00000000316C: 8711FF11 00040000
	v_accvgpr_write_b32 a255, 0                                // 000000003174: D3D940FF 18000080
	v_mov_b32_e32 v255, 0                                      // 00000000317C: 7FFE0280
	s_waitcnt lgkmcnt(0)                                       // 000000003180: BF8CC07F
	s_mul_i32 s60, s3, 32                                      // 000000003184: 923CA003
	s_cmp_lt_i32 s60, s50                                      // 000000003188: BF04323C
	s_cbranch_scc0 label_22C2                                  // 00000000318C: BF8421DE
	s_mov_b32 s80, 0                                           // 000000003190: BED00080
	s_mov_b32 s81, s64                                         // 000000003194: BED10040
	s_mul_i32 s60, s3, 4                                       // 000000003198: 923C8403
	s_add_u32 s46, s60, s46                                    // 00000000319C: 802E2E3C
	s_addc_u32 s47, 0, s47                                     // 0000000031A0: 822F2F80
	s_load_dword s77, s[46:47], 0x0                            // 0000000031A4: C0021357 00000000
	s_mul_i32 s60, s3, 32                                      // 0000000031AC: 923CA003
	s_mul_i32 s60, 4, s60                                      // 0000000031B0: 923C3C84
	v_and_b32_e32 v54, 15, v0                                  // 0000000031B4: 266C008F
	v_lshlrev_b32_e32 v54, 2, v54                              // 0000000031B8: 246C6C82
	v_add_u32_e32 v54, s60, v54                                // 0000000031BC: 686C6C3C
	v_mov_b32_e32 v55, 0                                       // 0000000031C0: 7E6E0280
	global_load_dword v6, v54, s[44:45]                        // 0000000031C4: DC508000 062C0036
	v_add_u32_e32 v54, 64, v54                                 // 0000000031CC: 686C6CC0
	global_load_dword v7, v54, s[44:45]                        // 0000000031D0: DC508000 072C0036
	s_mul_i32 s60, s3, 32                                      // 0000000031D8: 923CA003
	s_add_u32 s60, s5, s60                                     // 0000000031DC: 803C3C05
	s_mul_i32 s60, 4, s60                                      // 0000000031E0: 923C3C84
	s_add_u32 s44, s60, s44                                    // 0000000031E4: 802C2C3C
	s_addc_u32 s45, 0, s45                                     // 0000000031E8: 822D2D80
	s_load_dword s84, s[44:45], 0x0                            // 0000000031EC: C0021516 00000000
	s_load_dword s85, s[44:45], 0x10                           // 0000000031F4: C0021556 00000010
	s_load_dword s86, s[44:45], 0x20                           // 0000000031FC: C0021596 00000020
	s_load_dword s87, s[44:45], 0x30                           // 000000003204: C00215D6 00000030
	s_load_dword s88, s[44:45], 0x40                           // 00000000320C: C0021616 00000040
	s_load_dword s89, s[44:45], 0x50                           // 000000003214: C0021656 00000050
	s_load_dword s90, s[44:45], 0x60                           // 00000000321C: C0021696 00000060
	s_load_dword s91, s[44:45], 0x70                           // 000000003224: C00216D6 00000070
	s_waitcnt lgkmcnt(0)                                       // 00000000322C: BF8CC07F
	v_lshlrev_b32_e32 v54, 2, v0                               // 000000003230: 246C0082
	s_lshr_b32 s61, s84, 24                                    // 000000003234: 8F3D9854
	s_mul_i32 s61, s61, s68                                    // 000000003238: 923D443D
	s_mul_i32 s61, s61, s66                                    // 00000000323C: 923D423D
	s_and_b32 s84, s84, 0xffffff                               // 000000003240: 8654FF54 00FFFFFF
	s_mul_i32 s60, s84, s68                                    // 000000003248: 923C4454
	s_add_u32 s60, s61, s60                                    // 00000000324C: 803C3C3D
	v_add_u32_e64 v26, v54, s60                                // 000000003250: D134001A 00007936
	s_lshr_b32 s61, s85, 24                                    // 000000003258: 8F3D9855
	s_mul_i32 s61, s61, s68                                    // 00000000325C: 923D443D
	s_mul_i32 s61, s61, s66                                    // 000000003260: 923D423D
	s_and_b32 s85, s85, 0xffffff                               // 000000003264: 8655FF55 00FFFFFF
	s_mul_i32 s60, s85, s68                                    // 00000000326C: 923C4455
	s_add_u32 s60, s61, s60                                    // 000000003270: 803C3C3D
	v_add_u32_e64 v27, v54, s60                                // 000000003274: D134001B 00007936
	s_lshr_b32 s61, s86, 24                                    // 00000000327C: 8F3D9856
	s_mul_i32 s61, s61, s68                                    // 000000003280: 923D443D
	s_mul_i32 s61, s61, s66                                    // 000000003284: 923D423D
	s_and_b32 s86, s86, 0xffffff                               // 000000003288: 8656FF56 00FFFFFF
	s_mul_i32 s60, s86, s68                                    // 000000003290: 923C4456
	s_add_u32 s60, s61, s60                                    // 000000003294: 803C3C3D
	v_add_u32_e64 v28, v54, s60                                // 000000003298: D134001C 00007936
	s_lshr_b32 s61, s87, 24                                    // 0000000032A0: 8F3D9857
	s_mul_i32 s61, s61, s68                                    // 0000000032A4: 923D443D
	s_mul_i32 s61, s61, s66                                    // 0000000032A8: 923D423D
	s_and_b32 s87, s87, 0xffffff                               // 0000000032AC: 8657FF57 00FFFFFF
	s_mul_i32 s60, s87, s68                                    // 0000000032B4: 923C4457
	s_add_u32 s60, s61, s60                                    // 0000000032B8: 803C3C3D
	v_add_u32_e64 v29, v54, s60                                // 0000000032BC: D134001D 00007936
	s_lshr_b32 s61, s88, 24                                    // 0000000032C4: 8F3D9858
	s_mul_i32 s61, s61, s68                                    // 0000000032C8: 923D443D
	s_mul_i32 s61, s61, s66                                    // 0000000032CC: 923D423D
	s_and_b32 s88, s88, 0xffffff                               // 0000000032D0: 8658FF58 00FFFFFF
	s_mul_i32 s60, s88, s68                                    // 0000000032D8: 923C4458
	s_add_u32 s60, s61, s60                                    // 0000000032DC: 803C3C3D
	v_add_u32_e64 v30, v54, s60                                // 0000000032E0: D134001E 00007936
	s_lshr_b32 s61, s89, 24                                    // 0000000032E8: 8F3D9859
	s_mul_i32 s61, s61, s68                                    // 0000000032EC: 923D443D
	s_mul_i32 s61, s61, s66                                    // 0000000032F0: 923D423D
	s_and_b32 s89, s89, 0xffffff                               // 0000000032F4: 8659FF59 00FFFFFF
	s_mul_i32 s60, s89, s68                                    // 0000000032FC: 923C4459
	s_add_u32 s60, s61, s60                                    // 000000003300: 803C3C3D
	v_add_u32_e64 v31, v54, s60                                // 000000003304: D134001F 00007936
	s_lshr_b32 s61, s90, 24                                    // 00000000330C: 8F3D985A
	s_mul_i32 s61, s61, s68                                    // 000000003310: 923D443D
	s_mul_i32 s61, s61, s66                                    // 000000003314: 923D423D
	s_and_b32 s90, s90, 0xffffff                               // 000000003318: 865AFF5A 00FFFFFF
	s_mul_i32 s60, s90, s68                                    // 000000003320: 923C445A
	s_add_u32 s60, s61, s60                                    // 000000003324: 803C3C3D
	v_add_u32_e64 v32, v54, s60                                // 000000003328: D1340020 00007936
	s_lshr_b32 s61, s91, 24                                    // 000000003330: 8F3D985B
	s_mul_i32 s61, s61, s68                                    // 000000003334: 923D443D
	s_mul_i32 s61, s61, s66                                    // 000000003338: 923D423D
	s_and_b32 s91, s91, 0xffffff                               // 00000000333C: 865BFF5B 00FFFFFF
	s_mul_i32 s60, s91, s68                                    // 000000003344: 923C445B
	s_add_u32 s60, s61, s60                                    // 000000003348: 803C3C3D
	v_add_u32_e64 v33, v54, s60                                // 00000000334C: D1340021 00007936
	v_lshlrev_b32_e32 v54, 2, v0                               // 000000003354: 246C0082
	s_mul_i32 s60, s84, s71                                    // 000000003358: 923C4754
	v_add_u32_e64 v80, v54, s60                                // 00000000335C: D1340050 00007936
	v_mov_b32_e32 v81, 0                                       // 000000003364: 7EA20280
	s_mul_i32 s60, s85, s71                                    // 000000003368: 923C4755
	v_add_u32_e64 v82, v54, s60                                // 00000000336C: D1340052 00007936
	v_mov_b32_e32 v83, 0                                       // 000000003374: 7EA60280
	s_mul_i32 s60, s86, s71                                    // 000000003378: 923C4756
	v_add_u32_e64 v84, v54, s60                                // 00000000337C: D1340054 00007936
	v_mov_b32_e32 v85, 0                                       // 000000003384: 7EAA0280
	s_mul_i32 s60, s87, s71                                    // 000000003388: 923C4757
	v_add_u32_e64 v86, v54, s60                                // 00000000338C: D1340056 00007936
	v_mov_b32_e32 v87, 0                                       // 000000003394: 7EAE0280
	s_mul_i32 s60, s88, s71                                    // 000000003398: 923C4758
	v_add_u32_e64 v88, v54, s60                                // 00000000339C: D1340058 00007936
	v_mov_b32_e32 v89, 0                                       // 0000000033A4: 7EB20280
	s_mul_i32 s60, s89, s71                                    // 0000000033A8: 923C4759
	v_add_u32_e64 v90, v54, s60                                // 0000000033AC: D134005A 00007936
	v_mov_b32_e32 v91, 0                                       // 0000000033B4: 7EB60280
	s_mul_i32 s60, s90, s71                                    // 0000000033B8: 923C475A
	v_add_u32_e64 v92, v54, s60                                // 0000000033BC: D134005C 00007936
	v_mov_b32_e32 v93, 0                                       // 0000000033C4: 7EBA0280
	s_mul_i32 s60, s91, s71                                    // 0000000033C8: 923C475B
	v_add_u32_e64 v94, v54, s60                                // 0000000033CC: D134005E 00007936
	v_mov_b32_e32 v95, 0                                       // 0000000033D4: 7EBE0280
	s_mul_i32 s60, s5, 0x820                                   // 0000000033D8: 923CFF05 00000820
	s_add_u32 s50, 0, s60                                      // 0000000033E0: 80323C80
	s_add_u32 s51, 0x2080, s50                                 // 0000000033E4: 803332FF 00002080
	v_lshrrev_b32_e32 v54, 4, v0                               // 0000000033EC: 206C0084
	v_lshlrev_b32_e32 v55, 2, v54                              // 0000000033F0: 246E6C82
	v_and_b32_e32 v54, 15, v0                                  // 0000000033F4: 266C008F
	v_lshrrev_b32_e32 v56, 2, v54                              // 0000000033F8: 20706C82
	v_lshlrev_b32_e32 v56, 6, v56                              // 0000000033FC: 24707086
	v_add_u32_e32 v55, v56, v55                                // 000000003400: 686E6F38
	v_and_b32_e32 v54, 3, v0                                   // 000000003404: 266C0083
	v_mul_i32_i24_e32 v56, 0x208, v54                          // 000000003408: 0C706CFF 00000208
	v_add_u32_e32 v55, v56, v55                                // 000000003410: 686E6F38
	v_lshlrev_b32_e32 v2, 2, v55                               // 000000003414: 24046E82
	s_mul_i32 s60, s2, 0x200                                   // 000000003418: 923CFF02 00000200
	s_mul_i32 s60, s60, s69                                    // 000000003420: 923C453C
	s_mul_i32 s61, s77, s72                                    // 000000003424: 923D484D
	s_add_u32 s60, s61, s60                                    // 000000003428: 803C3C3D
	s_add_u32 s24, s60, s24                                    // 00000000342C: 8018183C
	s_addc_u32 s25, 0, s25                                     // 000000003430: 82191980
	s_mul_i32 s60, s5, 16                                      // 000000003434: 923C9005
	s_mul_i32 s60, s60, s69                                    // 000000003438: 923C453C
	v_lshlrev_b32_e32 v34, 4, v0                               // 00000000343C: 24440084
	v_add_u32_e32 v34, s60, v34                                // 000000003440: 6844443C
	s_mul_i32 s60, 64, s69                                     // 000000003444: 923C45C0
	v_add_u32_e32 v35, s60, v34                                // 000000003448: 6846443C
	v_add_u32_e32 v36, s60, v35                                // 00000000344C: 6848463C
	v_add_u32_e32 v37, s60, v36                                // 000000003450: 684A483C
	v_add_u32_e32 v38, s60, v37                                // 000000003454: 684C4A3C
	v_add_u32_e32 v39, s60, v38                                // 000000003458: 684E4C3C
	v_add_u32_e32 v40, s60, v39                                // 00000000345C: 68504E3C
	v_add_u32_e32 v41, s60, v40                                // 000000003460: 6852503C
	s_mul_i32 s60, s2, 0x2000                                  // 000000003464: 923CFF02 00002000
	s_mul_i32 s61, s77, s73                                    // 00000000346C: 923D494D
	s_add_u32 s60, s61, s60                                    // 000000003470: 803C3C3D
	s_add_u32 s12, s60, s12                                    // 000000003474: 800C0C3C
	s_addc_u32 s13, 0, s13                                     // 000000003478: 820D0D80
	s_mul_i32 s60, s5, 16                                      // 00000000347C: 923C9005
	s_mul_i32 s60, s60, s70                                    // 000000003480: 923C463C
	v_lshlrev_b32_e32 v42, 4, v0                               // 000000003484: 24540084
	v_add_u32_e32 v42, s60, v42                                // 000000003488: 6854543C
	s_mul_i32 s60, 64, s70                                     // 00000000348C: 923C46C0
	v_add_u32_e32 v43, s60, v42                                // 000000003490: 6856543C
	v_add_u32_e32 v44, s60, v43                                // 000000003494: 6858563C
	v_add_u32_e32 v45, s60, v44                                // 000000003498: 685A583C
	s_mul_i32 s60, s3, 32                                      // 00000000349C: 923CA003
	s_mul_i32 s60, 4, s60                                      // 0000000034A0: 923C3C84
	s_add_u32 s40, s60, s40                                    // 0000000034A4: 8028283C
	s_addc_u32 s41, 0, s41                                     // 0000000034A8: 82292980
	v_and_b32_e32 v54, 15, v0                                  // 0000000034AC: 266C008F
	v_lshlrev_b32_e32 v8, 2, v54                               // 0000000034B0: 24106C82
	v_add_u32_e32 v9, 64, v8                                   // 0000000034B4: 681210C0
	v_lshrrev_b32_e32 v54, 4, v0                               // 0000000034B8: 206C0084
	v_lshlrev_b32_e32 v55, 2, v54                              // 0000000034BC: 246E6C82
	v_and_b32_e32 v54, 15, v0                                  // 0000000034C0: 266C008F
	v_lshrrev_b32_e32 v56, 2, v54                              // 0000000034C4: 20706C82
	v_lshlrev_b32_e32 v56, 6, v56                              // 0000000034C8: 24707086
	v_add_u32_e32 v55, v56, v55                                // 0000000034CC: 686E6F38
	v_and_b32_e32 v54, 3, v0                                   // 0000000034D0: 266C0083
	v_add_u32_e32 v55, v54, v55                                // 0000000034D4: 686E6F36
	v_lshlrev_b32_e32 v10, 2, v55                              // 0000000034D8: 24146E82
	v_add_u32_e32 v11, 0x400, v10                              // 0000000034DC: 681614FF 00000400
	s_mul_i32 s60, s5, 16                                      // 0000000034E4: 923C9005
	s_mul_i32 s60, s60, 4                                      // 0000000034E8: 923C843C
	v_add_u32_e32 v10, s60, v10                                // 0000000034EC: 6814143C
	v_add_u32_e32 v11, s60, v11                                // 0000000034F0: 6816163C
	v_mov_b32_e32 v5, v10                                      // 0000000034F4: 7E0A030A
	s_mul_i32 s60, s2, 0x200                                   // 0000000034F8: 923CFF02 00000200
	s_mul_i32 s60, s60, 4                                      // 000000003500: 923C843C
	s_mul_i32 s61, s77, s74                                    // 000000003504: 923D4A4D
	s_add_u32 s61, s61, s60                                    // 000000003508: 803D3C3D
	s_mul_i32 s62, s77, s76                                    // 00000000350C: 923E4C4D
	s_add_u32 s62, s62, s60                                    // 000000003510: 803E3C3E
	s_add_u32 s32, s61, s32                                    // 000000003514: 8020203D
	s_addc_u32 s33, 0, s33                                     // 000000003518: 82212180
	s_add_u32 s36, s62, s36                                    // 00000000351C: 8024243E
	s_addc_u32 s37, 0, s37                                     // 000000003520: 82252580
	s_mul_i32 s60, s77, s75                                    // 000000003524: 923C4B4D
	s_add_u32 s16, s60, s16                                    // 000000003528: 8010103C
	s_addc_u32 s17, 0, s17                                     // 00000000352C: 82111180
	s_mov_b32 s57, 0x100                                       // 000000003530: BEB900FF 00000100
	s_mov_b32 s58, 0x1000                                      // 000000003538: BEBA00FF 00001000
	s_mov_b32 s79, 0x400                                       // 000000003540: BECF00FF 00000400
	s_mov_b32 s59, 0                                           // 000000003548: BEBB0080
	s_mul_i32 s60, s70, 0x100                                  // 00000000354C: 923CFF46 00000100
	s_sub_u32 s56, s60, 0x1000                                 // 000000003554: 80B8FF3C 00001000
	s_mov_b32 s78, 0x1000                                      // 00000000355C: BECE00FF 00001000
	s_mov_b32 s52, 0x7060302                                   // 000000003564: BEB400FF 07060302
	s_mov_b32 s53, 0x400                                       // 00000000356C: BEB500FF 00000400
	s_mov_b32 s54, 0x40100                                     // 000000003574: BEB600FF 00040100
	s_mov_b32 s55, 0x4020100                                   // 00000000357C: BEB700FF 04020100
	s_mov_b32 s6, 0x3fb8aa3b                                   // 000000003584: BE8600FF 3FB8AA3B
	s_mov_b32 s7, 0x3fb8aa3b                                   // 00000000358C: BE8700FF 3FB8AA3B
	s_mov_b32 s82, 0xbd92220c                                  // 000000003594: BED200FF BD92220C
	s_mov_b32 s83, 0xbd92220c                                  // 00000000359C: BED300FF BD92220C
	s_mov_b32 m0, s50                                          // 0000000035A4: BEFC0032
	v_mov_b32_e32 v58, 0xbfcc4231                              // 0000000035A8: 7E7402FF BFCC4231
	v_mov_b32_e32 v59, 0xbfcc4231                              // 0000000035B0: 7E7602FF BFCC4231
	v_mov_b32_e32 v51, 0xffff0000                              // 0000000035B8: 7E6602FF FFFF0000
	v_mov_b32_e32 v52, 0x7fff0000                              // 0000000035C0: 7E6802FF 7FFF0000
	v_mov_b32_e32 v53, 0x7fff                                  // 0000000035C8: 7E6A02FF 00007FFF
	s_waitcnt vmcnt(0) expcnt(0) lgkmcnt(0)                    // 0000000035D0: BF8C0000
	v_lshrrev_b32_e32 v54, 24, v6                              // 0000000035D4: 206C0C98
	v_mul_i32_i24_e32 v54, s66, v54                            // 0000000035D8: 0C6C6C42
	v_and_b32_e32 v55, 0xffffff, v6                            // 0000000035DC: 266E0CFF 00FFFFFF
	v_add_u32_e32 v6, v54, v55                                 // 0000000035E4: 680C6F36
	v_lshrrev_b32_e32 v54, 24, v7                              // 0000000035E8: 206C0E98
	v_mul_i32_i24_e32 v54, s66, v54                            // 0000000035EC: 0C6C6C42
	v_and_b32_e32 v55, 0xffffff, v7                            // 0000000035F0: 266E0EFF 00FFFFFF
	v_add_u32_e32 v7, v54, v55                                 // 0000000035F8: 680E6F36
	v_lshlrev_b32_e32 v6, 2, v6                                // 0000000035FC: 240C0C82
	v_lshlrev_b32_e32 v7, 2, v7                                // 000000003600: 240E0E82
	buffer_load_dword v14, v6, s[28:31], 0 offen               // 000000003604: E0501000 80070E06
	buffer_load_dword v15, v7, s[28:31], 0 offen               // 00000000360C: E0501000 80070F07
	buffer_load_dword v16, v10, s[32:35], 0 offen              // 000000003614: E0501000 8008100A
	buffer_load_dword v17, v11, s[32:35], 0 offen              // 00000000361C: E0501000 8008110B
	buffer_load_dword v18, v10, s[36:39], 0 offen              // 000000003624: E0501000 8009120A
	buffer_load_dword v19, v11, s[36:39], 0 offen              // 00000000362C: E0501000 8009130B
	buffer_load_dword v20, v8, s[40:43], 0 offen               // 000000003634: E0501000 800A1408
	buffer_load_dword v21, v9, s[40:43], 0 offen               // 00000000363C: E0501000 800A1509
	buffer_load_dword v26, s[20:23], 0 offen lds               // 000000003644: E0511000 8005001A
	s_add_u32 m0, 0x100, s50                                   // 00000000364C: 807C32FF 00000100
	buffer_load_dword v27, s[20:23], 0 offen lds               // 000000003654: E0511000 8005001B
	s_add_u32 m0, 0x200, s50                                   // 00000000365C: 807C32FF 00000200
	buffer_load_dword v28, s[20:23], 0 offen lds               // 000000003664: E0511000 8005001C
	s_add_u32 m0, 0x300, s50                                   // 00000000366C: 807C32FF 00000300
	buffer_load_dword v29, s[20:23], 0 offen lds               // 000000003674: E0511000 8005001D
	s_add_u32 m0, 0x400, s50                                   // 00000000367C: 807C32FF 00000400
	buffer_load_dword v30, s[20:23], 0 offen lds               // 000000003684: E0511000 8005001E
	s_add_u32 m0, 0x500, s50                                   // 00000000368C: 807C32FF 00000500
	buffer_load_dword v31, s[20:23], 0 offen lds               // 000000003694: E0511000 8005001F
	s_add_u32 m0, 0x600, s50                                   // 00000000369C: 807C32FF 00000600
	buffer_load_dword v32, s[20:23], 0 offen lds               // 0000000036A4: E0511000 80050020
	s_add_u32 m0, 0x700, s50                                   // 0000000036AC: 807C32FF 00000700
	buffer_load_dword v33, s[20:23], 0 offen lds               // 0000000036B4: E0511000 80050021
	s_add_u32 m0, 0, s51                                       // 0000000036BC: 807C3380
	s_add_u32 s20, s57, s20                                    // 0000000036C0: 80141439
	s_addc_u32 s21, 0, s21                                     // 0000000036C4: 82151580
	buffer_load_dword v26, s[20:23], 0 offen lds               // 0000000036C8: E0511000 8005001A
	s_add_u32 m0, 0x100, s51                                   // 0000000036D0: 807C33FF 00000100
	buffer_load_dword v27, s[20:23], 0 offen lds               // 0000000036D8: E0511000 8005001B
	s_add_u32 m0, 0x200, s51                                   // 0000000036E0: 807C33FF 00000200
	buffer_load_dword v28, s[20:23], 0 offen lds               // 0000000036E8: E0511000 8005001C
	s_add_u32 m0, 0x300, s51                                   // 0000000036F0: 807C33FF 00000300
	buffer_load_dword v29, s[20:23], 0 offen lds               // 0000000036F8: E0511000 8005001D
	s_add_u32 m0, 0x400, s51                                   // 000000003700: 807C33FF 00000400
	buffer_load_dword v30, s[20:23], 0 offen lds               // 000000003708: E0511000 8005001E
	s_add_u32 m0, 0x500, s51                                   // 000000003710: 807C33FF 00000500
	buffer_load_dword v31, s[20:23], 0 offen lds               // 000000003718: E0511000 8005001F
	s_add_u32 m0, 0x600, s51                                   // 000000003720: 807C33FF 00000600
	buffer_load_dword v32, s[20:23], 0 offen lds               // 000000003728: E0511000 80050020
	s_add_u32 m0, 0x700, s51                                   // 000000003730: 807C33FF 00000700
	buffer_load_dword v33, s[20:23], 0 offen lds               // 000000003738: E0511000 80050021
	s_add_u32 m0, 0, s50                                       // 000000003740: 807C3280
	s_add_u32 s20, s57, s20                                    // 000000003744: 80141439
	s_addc_u32 s21, 0, s21                                     // 000000003748: 82151580
	buffer_load_dwordx4 a[0:3], v34, s[24:27], 0 offen         // 00000000374C: E05C1000 80860022
	buffer_load_dwordx4 a[4:7], v34, s[24:27], 0 offen offset:1024// 000000003754: E05C1400 80860422
	buffer_load_dwordx4 a[8:11], v34, s[24:27], 0 offen offset:2048// 00000000375C: E05C1800 80860822
	buffer_load_dwordx4 a[12:15], v34, s[24:27], 0 offen offset:3072// 000000003764: E05C1C00 80860C22
	buffer_load_dwordx4 a[16:19], v35, s[24:27], 0 offen       // 00000000376C: E05C1000 80861023
	buffer_load_dwordx4 a[20:23], v35, s[24:27], 0 offen offset:1024// 000000003774: E05C1400 80861423
	buffer_load_dwordx4 a[24:27], v35, s[24:27], 0 offen offset:2048// 00000000377C: E05C1800 80861823
	buffer_load_dwordx4 a[28:31], v35, s[24:27], 0 offen offset:3072// 000000003784: E05C1C00 80861C23
	buffer_load_dwordx4 a[32:35], v36, s[24:27], 0 offen       // 00000000378C: E05C1000 80862024
	buffer_load_dwordx4 a[36:39], v36, s[24:27], 0 offen offset:1024// 000000003794: E05C1400 80862424
	buffer_load_dwordx4 a[40:43], v36, s[24:27], 0 offen offset:2048// 00000000379C: E05C1800 80862824
	buffer_load_dwordx4 a[44:47], v36, s[24:27], 0 offen offset:3072// 0000000037A4: E05C1C00 80862C24
	buffer_load_dwordx4 a[48:51], v37, s[24:27], 0 offen       // 0000000037AC: E05C1000 80863025
	buffer_load_dwordx4 a[52:55], v37, s[24:27], 0 offen offset:1024// 0000000037B4: E05C1400 80863425
	buffer_load_dwordx4 a[56:59], v37, s[24:27], 0 offen offset:2048// 0000000037BC: E05C1800 80863825
	buffer_load_dwordx4 a[60:63], v37, s[24:27], 0 offen offset:3072// 0000000037C4: E05C1C00 80863C25
	buffer_load_dwordx4 a[64:67], v38, s[24:27], 0 offen       // 0000000037CC: E05C1000 80864026
	buffer_load_dwordx4 a[68:71], v38, s[24:27], 0 offen offset:1024// 0000000037D4: E05C1400 80864426
	buffer_load_dwordx4 a[72:75], v38, s[24:27], 0 offen offset:2048// 0000000037DC: E05C1800 80864826
	buffer_load_dwordx4 a[76:79], v38, s[24:27], 0 offen offset:3072// 0000000037E4: E05C1C00 80864C26
	buffer_load_dwordx4 a[80:83], v39, s[24:27], 0 offen       // 0000000037EC: E05C1000 80865027
	buffer_load_dwordx4 a[84:87], v39, s[24:27], 0 offen offset:1024// 0000000037F4: E05C1400 80865427
	buffer_load_dwordx4 a[88:91], v39, s[24:27], 0 offen offset:2048// 0000000037FC: E05C1800 80865827
	buffer_load_dwordx4 a[92:95], v39, s[24:27], 0 offen offset:3072// 000000003804: E05C1C00 80865C27
	buffer_load_dwordx4 a[96:99], v40, s[24:27], 0 offen       // 00000000380C: E05C1000 80866028
	buffer_load_dwordx4 a[100:103], v40, s[24:27], 0 offen offset:1024// 000000003814: E05C1400 80866428
	buffer_load_dwordx4 a[104:107], v40, s[24:27], 0 offen offset:2048// 00000000381C: E05C1800 80866828
	buffer_load_dwordx4 a[108:111], v40, s[24:27], 0 offen offset:3072// 000000003824: E05C1C00 80866C28
	buffer_load_dwordx4 a[112:115], v41, s[24:27], 0 offen     // 00000000382C: E05C1000 80867029
	buffer_load_dwordx4 a[116:119], v41, s[24:27], 0 offen offset:1024// 000000003834: E05C1400 80867429
	buffer_load_dwordx4 a[120:123], v41, s[24:27], 0 offen offset:2048// 00000000383C: E05C1800 80867829
	buffer_load_dwordx4 a[124:127], v41, s[24:27], 0 offen offset:3072// 000000003844: E05C1C00 80867C29
	s_add_u32 s24, s58, s24                                    // 00000000384C: 8018183A
	s_addc_u32 s25, 0, s25                                     // 000000003850: 82191980
	v_mov_b32_e32 v128, 0                                      // 000000003854: 7F000280
	v_mov_b32_e32 v129, 0                                      // 000000003858: 7F020280
	v_mov_b32_e32 v130, 0                                      // 00000000385C: 7F040280
	v_mov_b32_e32 v131, 0                                      // 000000003860: 7F060280
	v_mov_b32_e32 v132, 0                                      // 000000003864: 7F080280
	v_mov_b32_e32 v133, 0                                      // 000000003868: 7F0A0280
	v_mov_b32_e32 v134, 0                                      // 00000000386C: 7F0C0280
	v_mov_b32_e32 v135, 0                                      // 000000003870: 7F0E0280
	v_mov_b32_e32 v136, 0                                      // 000000003874: 7F100280
	v_mov_b32_e32 v137, 0                                      // 000000003878: 7F120280
	v_mov_b32_e32 v138, 0                                      // 00000000387C: 7F140280
	v_mov_b32_e32 v139, 0                                      // 000000003880: 7F160280
	v_mov_b32_e32 v140, 0                                      // 000000003884: 7F180280
	v_mov_b32_e32 v141, 0                                      // 000000003888: 7F1A0280
	v_mov_b32_e32 v142, 0                                      // 00000000388C: 7F1C0280
	v_mov_b32_e32 v143, 0                                      // 000000003890: 7F1E0280
	v_mov_b32_e32 v144, 0                                      // 000000003894: 7F200280
	v_mov_b32_e32 v145, 0                                      // 000000003898: 7F220280
	v_mov_b32_e32 v146, 0                                      // 00000000389C: 7F240280
	v_mov_b32_e32 v147, 0                                      // 0000000038A0: 7F260280
	v_mov_b32_e32 v148, 0                                      // 0000000038A4: 7F280280
	v_mov_b32_e32 v149, 0                                      // 0000000038A8: 7F2A0280
	v_mov_b32_e32 v150, 0                                      // 0000000038AC: 7F2C0280
	v_mov_b32_e32 v151, 0                                      // 0000000038B0: 7F2E0280
	v_mov_b32_e32 v152, 0                                      // 0000000038B4: 7F300280
	v_mov_b32_e32 v153, 0                                      // 0000000038B8: 7F320280
	v_mov_b32_e32 v154, 0                                      // 0000000038BC: 7F340280
	v_mov_b32_e32 v155, 0                                      // 0000000038C0: 7F360280
	v_mov_b32_e32 v156, 0                                      // 0000000038C4: 7F380280
	v_mov_b32_e32 v157, 0                                      // 0000000038C8: 7F3A0280
	v_mov_b32_e32 v158, 0                                      // 0000000038CC: 7F3C0280
	v_mov_b32_e32 v159, 0                                      // 0000000038D0: 7F3E0280
	v_mov_b32_e32 v160, 0                                      // 0000000038D4: 7F400280
	v_mov_b32_e32 v161, 0                                      // 0000000038D8: 7F420280
	v_mov_b32_e32 v162, 0                                      // 0000000038DC: 7F440280
	v_mov_b32_e32 v163, 0                                      // 0000000038E0: 7F460280
	v_mov_b32_e32 v164, 0                                      // 0000000038E4: 7F480280
	v_mov_b32_e32 v165, 0                                      // 0000000038E8: 7F4A0280
	v_mov_b32_e32 v166, 0                                      // 0000000038EC: 7F4C0280
	v_mov_b32_e32 v167, 0                                      // 0000000038F0: 7F4E0280
	v_mov_b32_e32 v168, 0                                      // 0000000038F4: 7F500280
	v_mov_b32_e32 v169, 0                                      // 0000000038F8: 7F520280
	v_mov_b32_e32 v170, 0                                      // 0000000038FC: 7F540280
	v_mov_b32_e32 v171, 0                                      // 000000003900: 7F560280
	v_mov_b32_e32 v172, 0                                      // 000000003904: 7F580280
	v_mov_b32_e32 v173, 0                                      // 000000003908: 7F5A0280
	v_mov_b32_e32 v174, 0                                      // 00000000390C: 7F5C0280
	v_mov_b32_e32 v175, 0                                      // 000000003910: 7F5E0280
	v_mov_b32_e32 v176, 0                                      // 000000003914: 7F600280
	v_mov_b32_e32 v177, 0                                      // 000000003918: 7F620280
	v_mov_b32_e32 v178, 0                                      // 00000000391C: 7F640280
	v_mov_b32_e32 v179, 0                                      // 000000003920: 7F660280
	v_mov_b32_e32 v180, 0                                      // 000000003924: 7F680280
	v_mov_b32_e32 v181, 0                                      // 000000003928: 7F6A0280
	v_mov_b32_e32 v182, 0                                      // 00000000392C: 7F6C0280
	v_mov_b32_e32 v183, 0                                      // 000000003930: 7F6E0280
	v_mov_b32_e32 v184, 0                                      // 000000003934: 7F700280
	v_mov_b32_e32 v185, 0                                      // 000000003938: 7F720280
	v_mov_b32_e32 v186, 0                                      // 00000000393C: 7F740280
	v_mov_b32_e32 v187, 0                                      // 000000003940: 7F760280
	v_mov_b32_e32 v188, 0                                      // 000000003944: 7F780280
	v_mov_b32_e32 v189, 0                                      // 000000003948: 7F7A0280
	v_mov_b32_e32 v190, 0                                      // 00000000394C: 7F7C0280
	v_mov_b32_e32 v191, 0                                      // 000000003950: 7F7E0280
	v_lshrrev_b32_e32 v54, 4, v0                               // 000000003954: 206C0084
	v_mul_i32_i24_e32 v3, 34, v54                              // 000000003958: 0C066CA2
	v_and_b32_e32 v54, 15, v0                                  // 00000000395C: 266C008F
	v_mul_i32_i24_e32 v55, 2, v54                              // 000000003960: 0C6E6C82
	v_add_u32_e32 v3, v55, v3                                  // 000000003964: 68060737
	s_mul_i32 s60, s5, 0x88                                    // 000000003968: 923CFF05 00000088
	v_add_u32_e32 v3, s60, v3                                  // 000000003970: 6806063C
	v_lshlrev_b32_e32 v3, 2, v3                                // 000000003974: 24060682
	v_lshrrev_b32_e32 v54, 1, v0                               // 000000003978: 206C0081
	v_mul_i32_i24_e32 v4, 34, v54                              // 00000000397C: 0C086CA2
	v_and_b32_e32 v55, 1, v0                                   // 000000003980: 266E0081
	v_add_u32_e32 v4, v55, v4                                  // 000000003984: 68080937
	s_mul_i32 s60, s5, 2                                       // 000000003988: 923C8205
	v_add_u32_e32 v4, s60, v4                                  // 00000000398C: 6808083C
	v_lshlrev_b32_e32 v4, 2, v4                                // 000000003990: 24080882
	s_waitcnt vmcnt(40)                                        // 000000003994: BF8C8F78
	s_barrier                                                  // 000000003998: BF8A0000
	ds_read_b128 v[192:195], v2                                // 00000000399C: D9FE0000 C0000002
	ds_read_b128 v[196:199], v2 offset:64                      // 0000000039A4: D9FE0040 C4000002
	ds_read_b128 v[200:203], v2 offset:128                     // 0000000039AC: D9FE0080 C8000002
	ds_read_b128 v[204:207], v2 offset:192                     // 0000000039B4: D9FE00C0 CC000002
	ds_read_b128 v[208:211], v2 offset:1024                    // 0000000039BC: D9FE0400 D0000002
	ds_read_b128 v[212:215], v2 offset:1088                    // 0000000039C4: D9FE0440 D4000002
	ds_read_b128 v[216:219], v2 offset:1152                    // 0000000039CC: D9FE0480 D8000002
	ds_read_b128 v[220:223], v2 offset:1216                    // 0000000039D4: D9FE04C0 DC000002
	s_cmp_lt_i32 s5, 2                                         // 0000000039DC: BF048205
	s_cbranch_scc0 label_1271                                  // 0000000039E0: BF840F78

00000000000039e4 <label_02F9>:
	s_waitcnt vmcnt(24) lgkmcnt(0)                             // 0000000039E4: BF8C4078
	s_barrier                                                  // 0000000039E8: BF8A0000
	v_mfma_i32_16x16x32_i8 v[128:131], a[0:1], v[192:193], v[128:131]// 0000000039EC: D3D70080 0E038100
	v_mfma_i32_16x16x32_i8 v[128:131], a[2:3], v[194:195], v[128:131]// 0000000039F4: D3D70080 0E038502
	buffer_load_dwordx4 a[128:131], v34, s[24:27], 0 offen     // 0000000039FC: E05C1000 80868022
	v_mfma_i32_16x16x32_i8 v[128:131], a[4:5], v[196:197], v[128:131]// 000000003A04: D3D70080 0E038904
	v_mfma_i32_16x16x32_i8 v[128:131], a[6:7], v[198:199], v[128:131]// 000000003A0C: D3D70080 0E038D06
	buffer_load_dword v26, s[20:23], 0 offen lds               // 000000003A14: E0511000 8005001A
	s_add_u32 m0, 0x100, s50                                   // 000000003A1C: 807C32FF 00000100
	v_mfma_i32_16x16x32_i8 v[128:131], a[8:9], v[200:201], v[128:131]// 000000003A24: D3D70080 0E039108
	v_mfma_i32_16x16x32_i8 v[128:131], a[10:11], v[202:203], v[128:131]// 000000003A2C: D3D70080 0E03950A
	buffer_load_dwordx4 a[132:135], v34, s[24:27], 0 offen offset:1024// 000000003A34: E05C1400 80868422
	v_mfma_i32_16x16x32_i8 v[128:131], a[12:13], v[204:205], v[128:131]// 000000003A3C: D3D70080 0E03990C
	v_mfma_i32_16x16x32_i8 v[128:131], a[14:15], v[206:207], v[128:131]// 000000003A44: D3D70080 0E039D0E
	buffer_load_dword v27, s[20:23], 0 offen lds               // 000000003A4C: E0511000 8005001B
	s_add_u32 m0, 0x200, s50                                   // 000000003A54: 807C32FF 00000200
	v_mfma_i32_16x16x32_i8 v[132:135], a[0:1], v[208:209], v[132:135]// 000000003A5C: D3D70084 0E13A100
	v_mfma_i32_16x16x32_i8 v[132:135], a[2:3], v[210:211], v[132:135]// 000000003A64: D3D70084 0E13A502
	buffer_load_dwordx4 a[136:139], v34, s[24:27], 0 offen offset:2048// 000000003A6C: E05C1800 80868822
	v_mfma_i32_16x16x32_i8 v[132:135], a[4:5], v[212:213], v[132:135]// 000000003A74: D3D70084 0E13A904
	v_mfma_i32_16x16x32_i8 v[132:135], a[6:7], v[214:215], v[132:135]// 000000003A7C: D3D70084 0E13AD06
	buffer_load_dword v28, s[20:23], 0 offen lds               // 000000003A84: E0511000 8005001C
	s_add_u32 m0, 0x300, s50                                   // 000000003A8C: 807C32FF 00000300
	v_mfma_i32_16x16x32_i8 v[132:135], a[8:9], v[216:217], v[132:135]// 000000003A94: D3D70084 0E13B108
	v_mfma_i32_16x16x32_i8 v[132:135], a[10:11], v[218:219], v[132:135]// 000000003A9C: D3D70084 0E13B50A
	buffer_load_dwordx4 a[140:143], v34, s[24:27], 0 offen offset:3072// 000000003AA4: E05C1C00 80868C22
	v_mfma_i32_16x16x32_i8 v[132:135], a[12:13], v[220:221], v[132:135]// 000000003AAC: D3D70084 0E13B90C
	v_mfma_i32_16x16x32_i8 v[132:135], a[14:15], v[222:223], v[132:135]// 000000003AB4: D3D70084 0E13BD0E
	buffer_load_dword v29, s[20:23], 0 offen lds               // 000000003ABC: E0511000 8005001D
	s_add_u32 m0, 0x400, s50                                   // 000000003AC4: 807C32FF 00000400
	v_mfma_i32_16x16x32_i8 v[136:139], a[16:17], v[192:193], v[136:139]// 000000003ACC: D3D70088 0E238110
	v_mfma_i32_16x16x32_i8 v[136:139], a[18:19], v[194:195], v[136:139]// 000000003AD4: D3D70088 0E238512
	buffer_load_dwordx4 a[144:147], v35, s[24:27], 0 offen     // 000000003ADC: E05C1000 80869023
	v_mfma_i32_16x16x32_i8 v[136:139], a[20:21], v[196:197], v[136:139]// 000000003AE4: D3D70088 0E238914
	v_mfma_i32_16x16x32_i8 v[136:139], a[22:23], v[198:199], v[136:139]// 000000003AEC: D3D70088 0E238D16
	buffer_load_dword v30, s[20:23], 0 offen lds               // 000000003AF4: E0511000 8005001E
	s_add_u32 m0, 0x500, s50                                   // 000000003AFC: 807C32FF 00000500
	v_mfma_i32_16x16x32_i8 v[136:139], a[24:25], v[200:201], v[136:139]// 000000003B04: D3D70088 0E239118
	v_mfma_i32_16x16x32_i8 v[136:139], a[26:27], v[202:203], v[136:139]// 000000003B0C: D3D70088 0E23951A
	buffer_load_dwordx4 a[148:151], v35, s[24:27], 0 offen offset:1024// 000000003B14: E05C1400 80869423
	v_mfma_i32_16x16x32_i8 v[136:139], a[28:29], v[204:205], v[136:139]// 000000003B1C: D3D70088 0E23991C
	v_mfma_i32_16x16x32_i8 v[136:139], a[30:31], v[206:207], v[136:139]// 000000003B24: D3D70088 0E239D1E
	buffer_load_dword v31, s[20:23], 0 offen lds               // 000000003B2C: E0511000 8005001F
	s_add_u32 m0, 0x600, s50                                   // 000000003B34: 807C32FF 00000600
	v_mfma_i32_16x16x32_i8 v[140:143], a[16:17], v[208:209], v[140:143]// 000000003B3C: D3D7008C 0E33A110
	v_mfma_i32_16x16x32_i8 v[140:143], a[18:19], v[210:211], v[140:143]// 000000003B44: D3D7008C 0E33A512
	buffer_load_dwordx4 a[152:155], v35, s[24:27], 0 offen offset:2048// 000000003B4C: E05C1800 80869823
	v_mfma_i32_16x16x32_i8 v[140:143], a[20:21], v[212:213], v[140:143]// 000000003B54: D3D7008C 0E33A914
	v_mfma_i32_16x16x32_i8 v[140:143], a[22:23], v[214:215], v[140:143]// 000000003B5C: D3D7008C 0E33AD16
	buffer_load_dword v32, s[20:23], 0 offen lds               // 000000003B64: E0511000 80050020
	s_add_u32 m0, 0x700, s50                                   // 000000003B6C: 807C32FF 00000700
	v_mfma_i32_16x16x32_i8 v[140:143], a[24:25], v[216:217], v[140:143]// 000000003B74: D3D7008C 0E33B118
	v_mfma_i32_16x16x32_i8 v[140:143], a[26:27], v[218:219], v[140:143]// 000000003B7C: D3D7008C 0E33B51A
	buffer_load_dwordx4 a[156:159], v35, s[24:27], 0 offen offset:3072// 000000003B84: E05C1C00 80869C23
	v_mfma_i32_16x16x32_i8 v[140:143], a[28:29], v[220:221], v[140:143]// 000000003B8C: D3D7008C 0E33B91C
	v_mfma_i32_16x16x32_i8 v[140:143], a[30:31], v[222:223], v[140:143]// 000000003B94: D3D7008C 0E33BD1E
	buffer_load_dword v33, s[20:23], 0 offen lds               // 000000003B9C: E0511000 80050021
	s_add_u32 m0, 0, s51                                       // 000000003BA4: 807C3380
	s_waitcnt vmcnt(32)                                        // 000000003BA8: BF8C8F70
	v_mfma_i32_16x16x32_i8 v[144:147], a[32:33], v[192:193], v[144:147]// 000000003BAC: D3D70090 0E438120
	v_mfma_i32_16x16x32_i8 v[144:147], a[34:35], v[194:195], v[144:147]// 000000003BB4: D3D70090 0E438522
	buffer_load_dwordx4 a[160:163], v36, s[24:27], 0 offen     // 000000003BBC: E05C1000 8086A024
	v_mfma_i32_16x16x32_i8 v[144:147], a[36:37], v[196:197], v[144:147]// 000000003BC4: D3D70090 0E438924
	v_mfma_i32_16x16x32_i8 v[144:147], a[38:39], v[198:199], v[144:147]// 000000003BCC: D3D70090 0E438D26
	ds_read_b128 v[224:227], v2 offset:8320                    // 000000003BD4: D9FE2080 E0000002
	v_mfma_i32_16x16x32_i8 v[144:147], a[40:41], v[200:201], v[144:147]// 000000003BDC: D3D70090 0E439128
	v_mfma_i32_16x16x32_i8 v[144:147], a[42:43], v[202:203], v[144:147]// 000000003BE4: D3D70090 0E43952A
	buffer_load_dwordx4 a[164:167], v36, s[24:27], 0 offen offset:1024// 000000003BEC: E05C1400 8086A424
	v_mfma_i32_16x16x32_i8 v[144:147], a[44:45], v[204:205], v[144:147]// 000000003BF4: D3D70090 0E43992C
	v_mfma_i32_16x16x32_i8 v[144:147], a[46:47], v[206:207], v[144:147]// 000000003BFC: D3D70090 0E439D2E
	ds_read_b128 v[228:231], v2 offset:8384                    // 000000003C04: D9FE20C0 E4000002
	v_mfma_i32_16x16x32_i8 v[148:151], a[32:33], v[208:209], v[148:151]// 000000003C0C: D3D70094 0E53A120
	v_mfma_i32_16x16x32_i8 v[148:151], a[34:35], v[210:211], v[148:151]// 000000003C14: D3D70094 0E53A522
	buffer_load_dwordx4 a[168:171], v36, s[24:27], 0 offen offset:2048// 000000003C1C: E05C1800 8086A824
	v_mfma_i32_16x16x32_i8 v[148:151], a[36:37], v[212:213], v[148:151]// 000000003C24: D3D70094 0E53A924
	v_mfma_i32_16x16x32_i8 v[148:151], a[38:39], v[214:215], v[148:151]// 000000003C2C: D3D70094 0E53AD26
	ds_read_b128 v[232:235], v2 offset:8448                    // 000000003C34: D9FE2100 E8000002
	v_mfma_i32_16x16x32_i8 v[148:151], a[40:41], v[216:217], v[148:151]// 000000003C3C: D3D70094 0E53B128
	v_mfma_i32_16x16x32_i8 v[148:151], a[42:43], v[218:219], v[148:151]// 000000003C44: D3D70094 0E53B52A
	buffer_load_dwordx4 a[172:175], v36, s[24:27], 0 offen offset:3072// 000000003C4C: E05C1C00 8086AC24
	v_mfma_i32_16x16x32_i8 v[148:151], a[44:45], v[220:221], v[148:151]// 000000003C54: D3D70094 0E53B92C
	v_mfma_i32_16x16x32_i8 v[148:151], a[46:47], v[222:223], v[148:151]// 000000003C5C: D3D70094 0E53BD2E
	ds_read_b128 v[236:239], v2 offset:8512                    // 000000003C64: D9FE2140 EC000002
	v_mfma_i32_16x16x32_i8 v[152:155], a[48:49], v[192:193], v[152:155]// 000000003C6C: D3D70098 0E638130
	v_mfma_i32_16x16x32_i8 v[152:155], a[50:51], v[194:195], v[152:155]// 000000003C74: D3D70098 0E638532
	buffer_load_dwordx4 a[176:179], v37, s[24:27], 0 offen     // 000000003C7C: E05C1000 8086B025
	v_mfma_i32_16x16x32_i8 v[152:155], a[52:53], v[196:197], v[152:155]// 000000003C84: D3D70098 0E638934
	v_mfma_i32_16x16x32_i8 v[152:155], a[54:55], v[198:199], v[152:155]// 000000003C8C: D3D70098 0E638D36
	ds_read_b128 v[240:243], v2 offset:9344                    // 000000003C94: D9FE2480 F0000002
	v_mfma_i32_16x16x32_i8 v[152:155], a[56:57], v[200:201], v[152:155]// 000000003C9C: D3D70098 0E639138
	v_mfma_i32_16x16x32_i8 v[152:155], a[58:59], v[202:203], v[152:155]// 000000003CA4: D3D70098 0E63953A
	buffer_load_dwordx4 a[180:183], v37, s[24:27], 0 offen offset:1024// 000000003CAC: E05C1400 8086B425
	v_mfma_i32_16x16x32_i8 v[152:155], a[60:61], v[204:205], v[152:155]// 000000003CB4: D3D70098 0E63993C
	v_mfma_i32_16x16x32_i8 v[152:155], a[62:63], v[206:207], v[152:155]// 000000003CBC: D3D70098 0E639D3E
	ds_read_b128 v[244:247], v2 offset:9408                    // 000000003CC4: D9FE24C0 F4000002
	v_mfma_i32_16x16x32_i8 v[156:159], a[48:49], v[208:209], v[156:159]// 000000003CCC: D3D7009C 0E73A130
	v_mfma_i32_16x16x32_i8 v[156:159], a[50:51], v[210:211], v[156:159]// 000000003CD4: D3D7009C 0E73A532
	buffer_load_dwordx4 a[184:187], v37, s[24:27], 0 offen offset:2048// 000000003CDC: E05C1800 8086B825
	v_mfma_i32_16x16x32_i8 v[156:159], a[52:53], v[212:213], v[156:159]// 000000003CE4: D3D7009C 0E73A934
	v_mfma_i32_16x16x32_i8 v[156:159], a[54:55], v[214:215], v[156:159]// 000000003CEC: D3D7009C 0E73AD36
	ds_read_b128 v[248:251], v2 offset:9472                    // 000000003CF4: D9FE2500 F8000002
	v_mfma_i32_16x16x32_i8 v[156:159], a[56:57], v[216:217], v[156:159]// 000000003CFC: D3D7009C 0E73B138
	v_mfma_i32_16x16x32_i8 v[156:159], a[58:59], v[218:219], v[156:159]// 000000003D04: D3D7009C 0E73B53A
	buffer_load_dwordx4 a[188:191], v37, s[24:27], 0 offen offset:3072// 000000003D0C: E05C1C00 8086BC25
	v_mfma_i32_16x16x32_i8 v[156:159], a[60:61], v[220:221], v[156:159]// 000000003D14: D3D7009C 0E73B93C
	v_mfma_i32_16x16x32_i8 v[156:159], a[62:63], v[222:223], v[156:159]// 000000003D1C: D3D7009C 0E73BD3E
	ds_read_b128 v[252:255], v2 offset:9536                    // 000000003D24: D9FE2540 FC000002
	s_waitcnt vmcnt(32)                                        // 000000003D2C: BF8C8F70
	v_mfma_i32_16x16x32_i8 v[160:163], a[64:65], v[192:193], v[160:163]// 000000003D30: D3D700A0 0E838140
	v_mfma_i32_16x16x32_i8 v[160:163], a[66:67], v[194:195], v[160:163]// 000000003D38: D3D700A0 0E838542
	buffer_load_dwordx4 a[192:195], v38, s[24:27], 0 offen     // 000000003D40: E05C1000 8086C026
	v_mfma_i32_16x16x32_i8 v[160:163], a[68:69], v[196:197], v[160:163]// 000000003D48: D3D700A0 0E838944
	s_add_u32 s60, 0x300, s80                                  // 000000003D50: 803C50FF 00000300
	s_cmp_lt_u32 s60, s81                                      // 000000003D58: BF0A513C
	s_cselect_b32 s57, s57, 0                                  // 000000003D5C: 85398039
	v_mfma_i32_16x16x32_i8 v[160:163], a[70:71], v[198:199], v[160:163]// 000000003D60: D3D700A0 0E838D46
	v_mfma_i32_16x16x32_i8 v[160:163], a[72:73], v[200:201], v[160:163]// 000000003D68: D3D700A0 0E839148
	v_mfma_i32_16x16x32_i8 v[160:163], a[74:75], v[202:203], v[160:163]// 000000003D70: D3D700A0 0E83954A
	buffer_load_dwordx4 a[196:199], v38, s[24:27], 0 offen offset:1024// 000000003D78: E05C1400 8086C426
	v_mfma_i32_16x16x32_i8 v[160:163], a[76:77], v[204:205], v[160:163]// 000000003D80: D3D700A0 0E83994C
	s_add_u32 s60, 0x200, s80                                  // 000000003D88: 803C50FF 00000200
	s_cmp_lt_u32 s60, s81                                      // 000000003D90: BF0A513C
	s_cselect_b32 s58, s58, 0                                  // 000000003D94: 853A803A
	v_mfma_i32_16x16x32_i8 v[160:163], a[78:79], v[206:207], v[160:163]// 000000003D98: D3D700A0 0E839D4E
	v_mfma_i32_16x16x32_i8 v[164:167], a[64:65], v[208:209], v[164:167]// 000000003DA0: D3D700A4 0E93A140
	v_mfma_i32_16x16x32_i8 v[164:167], a[66:67], v[210:211], v[164:167]// 000000003DA8: D3D700A4 0E93A542
	buffer_load_dwordx4 a[200:203], v38, s[24:27], 0 offen offset:2048// 000000003DB0: E05C1800 8086C826
	v_mfma_i32_16x16x32_i8 v[164:167], a[68:69], v[212:213], v[164:167]// 000000003DB8: D3D700A4 0E93A944
	s_add_u32 s20, s57, s20                                    // 000000003DC0: 80141439
	s_addc_u32 s21, 0, s21                                     // 000000003DC4: 82151580
	v_mfma_i32_16x16x32_i8 v[164:167], a[70:71], v[214:215], v[164:167]// 000000003DC8: D3D700A4 0E93AD46
	v_mfma_i32_16x16x32_i8 v[164:167], a[72:73], v[216:217], v[164:167]// 000000003DD0: D3D700A4 0E93B148
	v_mfma_i32_16x16x32_i8 v[164:167], a[74:75], v[218:219], v[164:167]// 000000003DD8: D3D700A4 0E93B54A
	buffer_load_dwordx4 a[204:207], v38, s[24:27], 0 offen offset:3072// 000000003DE0: E05C1C00 8086CC26
	v_mfma_i32_16x16x32_i8 v[164:167], a[76:77], v[220:221], v[164:167]// 000000003DE8: D3D700A4 0E93B94C
	v_mfma_i32_16x16x32_i8 v[164:167], a[78:79], v[222:223], v[164:167]// 000000003DF0: D3D700A4 0E93BD4E
	v_mfma_i32_16x16x32_i8 v[168:171], a[80:81], v[192:193], v[168:171]// 000000003DF8: D3D700A8 0EA38150
	v_mfma_i32_16x16x32_i8 v[168:171], a[82:83], v[194:195], v[168:171]// 000000003E00: D3D700A8 0EA38552
	buffer_load_dwordx4 a[208:211], v39, s[24:27], 0 offen     // 000000003E08: E05C1000 8086D027
	v_mfma_i32_16x16x32_i8 v[168:171], a[84:85], v[196:197], v[168:171]// 000000003E10: D3D700A8 0EA38954
	v_mfma_i32_16x16x32_i8 v[168:171], a[86:87], v[198:199], v[168:171]// 000000003E18: D3D700A8 0EA38D56
	v_mfma_i32_16x16x32_i8 v[168:171], a[88:89], v[200:201], v[168:171]// 000000003E20: D3D700A8 0EA39158
	v_mfma_i32_16x16x32_i8 v[168:171], a[90:91], v[202:203], v[168:171]// 000000003E28: D3D700A8 0EA3955A
	buffer_load_dwordx4 a[212:215], v39, s[24:27], 0 offen offset:1024// 000000003E30: E05C1400 8086D427
	v_mfma_i32_16x16x32_i8 v[168:171], a[92:93], v[204:205], v[168:171]// 000000003E38: D3D700A8 0EA3995C
	v_mfma_i32_16x16x32_i8 v[168:171], a[94:95], v[206:207], v[168:171]// 000000003E40: D3D700A8 0EA39D5E
	v_mfma_i32_16x16x32_i8 v[172:175], a[80:81], v[208:209], v[172:175]// 000000003E48: D3D700AC 0EB3A150
	v_mfma_i32_16x16x32_i8 v[172:175], a[82:83], v[210:211], v[172:175]// 000000003E50: D3D700AC 0EB3A552
	buffer_load_dwordx4 a[216:219], v39, s[24:27], 0 offen offset:2048// 000000003E58: E05C1800 8086D827
	v_mfma_i32_16x16x32_i8 v[172:175], a[84:85], v[212:213], v[172:175]// 000000003E60: D3D700AC 0EB3A954
	v_mfma_i32_16x16x32_i8 v[172:175], a[86:87], v[214:215], v[172:175]// 000000003E68: D3D700AC 0EB3AD56
	v_mfma_i32_16x16x32_i8 v[172:175], a[88:89], v[216:217], v[172:175]// 000000003E70: D3D700AC 0EB3B158
	v_mfma_i32_16x16x32_i8 v[172:175], a[90:91], v[218:219], v[172:175]// 000000003E78: D3D700AC 0EB3B55A
	buffer_load_dwordx4 a[220:223], v39, s[24:27], 0 offen offset:3072// 000000003E80: E05C1C00 8086DC27
	v_mfma_i32_16x16x32_i8 v[172:175], a[92:93], v[220:221], v[172:175]// 000000003E88: D3D700AC 0EB3B95C
	v_mfma_i32_16x16x32_i8 v[172:175], a[94:95], v[222:223], v[172:175]// 000000003E90: D3D700AC 0EB3BD5E
	s_waitcnt vmcnt(32)                                        // 000000003E98: BF8C8F70
	v_mfma_i32_16x16x32_i8 v[176:179], a[96:97], v[192:193], v[176:179]// 000000003E9C: D3D700B0 0EC38160
	v_mfma_i32_16x16x32_i8 v[176:179], a[98:99], v[194:195], v[176:179]// 000000003EA4: D3D700B0 0EC38562
	buffer_load_dwordx4 a[224:227], v40, s[24:27], 0 offen     // 000000003EAC: E05C1000 8086E028
	v_mfma_i32_16x16x32_i8 v[176:179], a[100:101], v[196:197], v[176:179]// 000000003EB4: D3D700B0 0EC38964
	v_mfma_i32_16x16x32_i8 v[176:179], a[102:103], v[198:199], v[176:179]// 000000003EBC: D3D700B0 0EC38D66
	v_mfma_i32_16x16x32_i8 v[176:179], a[104:105], v[200:201], v[176:179]// 000000003EC4: D3D700B0 0EC39168
	v_mfma_i32_16x16x32_i8 v[176:179], a[106:107], v[202:203], v[176:179]// 000000003ECC: D3D700B0 0EC3956A
	buffer_load_dwordx4 a[228:231], v40, s[24:27], 0 offen offset:1024// 000000003ED4: E05C1400 8086E428
	v_mfma_i32_16x16x32_i8 v[176:179], a[108:109], v[204:205], v[176:179]// 000000003EDC: D3D700B0 0EC3996C
	v_mfma_i32_16x16x32_i8 v[176:179], a[110:111], v[206:207], v[176:179]// 000000003EE4: D3D700B0 0EC39D6E
	v_mfma_i32_16x16x32_i8 v[180:183], a[96:97], v[208:209], v[180:183]// 000000003EEC: D3D700B4 0ED3A160
	v_mfma_i32_16x16x32_i8 v[180:183], a[98:99], v[210:211], v[180:183]// 000000003EF4: D3D700B4 0ED3A562
	buffer_load_dwordx4 a[232:235], v40, s[24:27], 0 offen offset:2048// 000000003EFC: E05C1800 8086E828
	v_mfma_i32_16x16x32_i8 v[180:183], a[100:101], v[212:213], v[180:183]// 000000003F04: D3D700B4 0ED3A964
	v_mfma_i32_16x16x32_i8 v[180:183], a[102:103], v[214:215], v[180:183]// 000000003F0C: D3D700B4 0ED3AD66
	v_mfma_i32_16x16x32_i8 v[180:183], a[104:105], v[216:217], v[180:183]// 000000003F14: D3D700B4 0ED3B168
	v_mfma_i32_16x16x32_i8 v[180:183], a[106:107], v[218:219], v[180:183]// 000000003F1C: D3D700B4 0ED3B56A
	buffer_load_dwordx4 a[236:239], v40, s[24:27], 0 offen offset:3072// 000000003F24: E05C1C00 8086EC28
	v_mfma_i32_16x16x32_i8 v[180:183], a[108:109], v[220:221], v[180:183]// 000000003F2C: D3D700B4 0ED3B96C
	v_mfma_i32_16x16x32_i8 v[180:183], a[110:111], v[222:223], v[180:183]// 000000003F34: D3D700B4 0ED3BD6E
	v_mfma_i32_16x16x32_i8 v[184:187], a[112:113], v[192:193], v[184:187]// 000000003F3C: D3D700B8 0EE38170
	v_mfma_i32_16x16x32_i8 v[184:187], a[114:115], v[194:195], v[184:187]// 000000003F44: D3D700B8 0EE38572
	buffer_load_dwordx4 a[240:243], v41, s[24:27], 0 offen     // 000000003F4C: E05C1000 8086F029
	v_mfma_i32_16x16x32_i8 v[184:187], a[116:117], v[196:197], v[184:187]// 000000003F54: D3D700B8 0EE38974
	v_mfma_i32_16x16x32_i8 v[184:187], a[118:119], v[198:199], v[184:187]// 000000003F5C: D3D700B8 0EE38D76
	v_mfma_i32_16x16x32_i8 v[184:187], a[120:121], v[200:201], v[184:187]// 000000003F64: D3D700B8 0EE39178
	v_mfma_i32_16x16x32_i8 v[184:187], a[122:123], v[202:203], v[184:187]// 000000003F6C: D3D700B8 0EE3957A
	buffer_load_dwordx4 a[244:247], v41, s[24:27], 0 offen offset:1024// 000000003F74: E05C1400 8086F429
	v_mfma_i32_16x16x32_i8 v[184:187], a[124:125], v[204:205], v[184:187]// 000000003F7C: D3D700B8 0EE3997C
	v_mfma_i32_16x16x32_i8 v[184:187], a[126:127], v[206:207], v[184:187]// 000000003F84: D3D700B8 0EE39D7E
	v_mfma_i32_16x16x32_i8 v[188:191], a[112:113], v[208:209], v[188:191]// 000000003F8C: D3D700BC 0EF3A170
	v_mfma_i32_16x16x32_i8 v[188:191], a[114:115], v[210:211], v[188:191]// 000000003F94: D3D700BC 0EF3A572
	buffer_load_dwordx4 a[248:251], v41, s[24:27], 0 offen offset:2048// 000000003F9C: E05C1800 8086F829
	v_mfma_i32_16x16x32_i8 v[188:191], a[116:117], v[212:213], v[188:191]// 000000003FA4: D3D700BC 0EF3A974
	v_mfma_i32_16x16x32_i8 v[188:191], a[118:119], v[214:215], v[188:191]// 000000003FAC: D3D700BC 0EF3AD76
	v_mfma_i32_16x16x32_i8 v[188:191], a[120:121], v[216:217], v[188:191]// 000000003FB4: D3D700BC 0EF3B178
	v_mfma_i32_16x16x32_i8 v[188:191], a[122:123], v[218:219], v[188:191]// 000000003FBC: D3D700BC 0EF3B57A
	buffer_load_dwordx4 a[252:255], v41, s[24:27], 0 offen offset:3072// 000000003FC4: E05C1C00 8086FC29
	v_mfma_i32_16x16x32_i8 v[188:191], a[124:125], v[220:221], v[188:191]// 000000003FCC: D3D700BC 0EF3B97C
	s_add_u32 s24, s58, s24                                    // 000000003FD4: 8018183A
	s_addc_u32 s25, 0, s25                                     // 000000003FD8: 82191980
	v_mfma_i32_16x16x32_i8 v[188:191], a[126:127], v[222:223], v[188:191]// 000000003FDC: D3D700BC 0EF3BD7E
	s_addk_i32 s80, 0x100                                      // 000000003FE4: B7500100
	s_cmp_lt_i32 s80, s81                                      // 000000003FE8: BF045150
	s_cbranch_scc0 label_0600                                  // 000000003FEC: BF840184
	s_waitcnt vmcnt(24) lgkmcnt(0)                             // 000000003FF0: BF8C4078
	s_barrier                                                  // 000000003FF4: BF8A0000
	v_mfma_i32_16x16x32_i8 v[128:131], a[128:129], v[224:225], v[128:131]// 000000003FF8: D3D70080 0E03C180
	v_mfma_i32_16x16x32_i8 v[128:131], a[130:131], v[226:227], v[128:131]// 000000004000: D3D70080 0E03C582
	buffer_load_dwordx4 a[0:3], v34, s[24:27], 0 offen         // 000000004008: E05C1000 80860022
	v_mfma_i32_16x16x32_i8 v[128:131], a[132:133], v[228:229], v[128:131]// 000000004010: D3D70080 0E03C984
	v_mfma_i32_16x16x32_i8 v[128:131], a[134:135], v[230:231], v[128:131]// 000000004018: D3D70080 0E03CD86
	buffer_load_dword v26, s[20:23], 0 offen lds               // 000000004020: E0511000 8005001A
	s_add_u32 m0, 0x100, s51                                   // 000000004028: 807C33FF 00000100
	v_mfma_i32_16x16x32_i8 v[128:131], a[136:137], v[232:233], v[128:131]// 000000004030: D3D70080 0E03D188
	v_mfma_i32_16x16x32_i8 v[128:131], a[138:139], v[234:235], v[128:131]// 000000004038: D3D70080 0E03D58A
	buffer_load_dwordx4 a[4:7], v34, s[24:27], 0 offen offset:1024// 000000004040: E05C1400 80860422
	v_mfma_i32_16x16x32_i8 v[128:131], a[140:141], v[236:237], v[128:131]// 000000004048: D3D70080 0E03D98C
	v_mfma_i32_16x16x32_i8 v[128:131], a[142:143], v[238:239], v[128:131]// 000000004050: D3D70080 0E03DD8E
	buffer_load_dword v27, s[20:23], 0 offen lds               // 000000004058: E0511000 8005001B
	s_add_u32 m0, 0x200, s51                                   // 000000004060: 807C33FF 00000200
	v_mfma_i32_16x16x32_i8 v[132:135], a[128:129], v[240:241], v[132:135]// 000000004068: D3D70084 0E13E180
	v_mfma_i32_16x16x32_i8 v[132:135], a[130:131], v[242:243], v[132:135]// 000000004070: D3D70084 0E13E582
	buffer_load_dwordx4 a[8:11], v34, s[24:27], 0 offen offset:2048// 000000004078: E05C1800 80860822
	v_mfma_i32_16x16x32_i8 v[132:135], a[132:133], v[244:245], v[132:135]// 000000004080: D3D70084 0E13E984
	v_mfma_i32_16x16x32_i8 v[132:135], a[134:135], v[246:247], v[132:135]// 000000004088: D3D70084 0E13ED86
	buffer_load_dword v28, s[20:23], 0 offen lds               // 000000004090: E0511000 8005001C
	s_add_u32 m0, 0x300, s51                                   // 000000004098: 807C33FF 00000300
	v_mfma_i32_16x16x32_i8 v[132:135], a[136:137], v[248:249], v[132:135]// 0000000040A0: D3D70084 0E13F188
	v_mfma_i32_16x16x32_i8 v[132:135], a[138:139], v[250:251], v[132:135]// 0000000040A8: D3D70084 0E13F58A
	buffer_load_dwordx4 a[12:15], v34, s[24:27], 0 offen offset:3072// 0000000040B0: E05C1C00 80860C22
	v_mfma_i32_16x16x32_i8 v[132:135], a[140:141], v[252:253], v[132:135]// 0000000040B8: D3D70084 0E13F98C
	v_mfma_i32_16x16x32_i8 v[132:135], a[142:143], v[254:255], v[132:135]// 0000000040C0: D3D70084 0E13FD8E
	buffer_load_dword v29, s[20:23], 0 offen lds               // 0000000040C8: E0511000 8005001D
	s_add_u32 m0, 0x400, s51                                   // 0000000040D0: 807C33FF 00000400
	v_mfma_i32_16x16x32_i8 v[136:139], a[144:145], v[224:225], v[136:139]// 0000000040D8: D3D70088 0E23C190
	v_mfma_i32_16x16x32_i8 v[136:139], a[146:147], v[226:227], v[136:139]// 0000000040E0: D3D70088 0E23C592
	buffer_load_dwordx4 a[16:19], v35, s[24:27], 0 offen       // 0000000040E8: E05C1000 80861023
	v_mfma_i32_16x16x32_i8 v[136:139], a[148:149], v[228:229], v[136:139]// 0000000040F0: D3D70088 0E23C994
	v_mfma_i32_16x16x32_i8 v[136:139], a[150:151], v[230:231], v[136:139]// 0000000040F8: D3D70088 0E23CD96
	buffer_load_dword v30, s[20:23], 0 offen lds               // 000000004100: E0511000 8005001E
	s_add_u32 m0, 0x500, s51                                   // 000000004108: 807C33FF 00000500
	v_mfma_i32_16x16x32_i8 v[136:139], a[152:153], v[232:233], v[136:139]// 000000004110: D3D70088 0E23D198
	v_mfma_i32_16x16x32_i8 v[136:139], a[154:155], v[234:235], v[136:139]// 000000004118: D3D70088 0E23D59A
	buffer_load_dwordx4 a[20:23], v35, s[24:27], 0 offen offset:1024// 000000004120: E05C1400 80861423
	v_mfma_i32_16x16x32_i8 v[136:139], a[156:157], v[236:237], v[136:139]// 000000004128: D3D70088 0E23D99C
	v_mfma_i32_16x16x32_i8 v[136:139], a[158:159], v[238:239], v[136:139]// 000000004130: D3D70088 0E23DD9E
	buffer_load_dword v31, s[20:23], 0 offen lds               // 000000004138: E0511000 8005001F
	s_add_u32 m0, 0x600, s51                                   // 000000004140: 807C33FF 00000600
	v_mfma_i32_16x16x32_i8 v[140:143], a[144:145], v[240:241], v[140:143]// 000000004148: D3D7008C 0E33E190
	v_mfma_i32_16x16x32_i8 v[140:143], a[146:147], v[242:243], v[140:143]// 000000004150: D3D7008C 0E33E592
	buffer_load_dwordx4 a[24:27], v35, s[24:27], 0 offen offset:2048// 000000004158: E05C1800 80861823
	v_mfma_i32_16x16x32_i8 v[140:143], a[148:149], v[244:245], v[140:143]// 000000004160: D3D7008C 0E33E994
	v_mfma_i32_16x16x32_i8 v[140:143], a[150:151], v[246:247], v[140:143]// 000000004168: D3D7008C 0E33ED96
	buffer_load_dword v32, s[20:23], 0 offen lds               // 000000004170: E0511000 80050020
	s_add_u32 m0, 0x700, s51                                   // 000000004178: 807C33FF 00000700
	v_mfma_i32_16x16x32_i8 v[140:143], a[152:153], v[248:249], v[140:143]// 000000004180: D3D7008C 0E33F198
	v_mfma_i32_16x16x32_i8 v[140:143], a[154:155], v[250:251], v[140:143]// 000000004188: D3D7008C 0E33F59A
	buffer_load_dwordx4 a[28:31], v35, s[24:27], 0 offen offset:3072// 000000004190: E05C1C00 80861C23
	v_mfma_i32_16x16x32_i8 v[140:143], a[156:157], v[252:253], v[140:143]// 000000004198: D3D7008C 0E33F99C
	v_mfma_i32_16x16x32_i8 v[140:143], a[158:159], v[254:255], v[140:143]// 0000000041A0: D3D7008C 0E33FD9E
	buffer_load_dword v33, s[20:23], 0 offen lds               // 0000000041A8: E0511000 80050021
	s_add_u32 m0, 0, s50                                       // 0000000041B0: 807C3280
	s_waitcnt vmcnt(32)                                        // 0000000041B4: BF8C8F70
	v_mfma_i32_16x16x32_i8 v[144:147], a[160:161], v[224:225], v[144:147]// 0000000041B8: D3D70090 0E43C1A0
	v_mfma_i32_16x16x32_i8 v[144:147], a[162:163], v[226:227], v[144:147]// 0000000041C0: D3D70090 0E43C5A2
	buffer_load_dwordx4 a[32:35], v36, s[24:27], 0 offen       // 0000000041C8: E05C1000 80862024
	v_mfma_i32_16x16x32_i8 v[144:147], a[164:165], v[228:229], v[144:147]// 0000000041D0: D3D70090 0E43C9A4
	v_mfma_i32_16x16x32_i8 v[144:147], a[166:167], v[230:231], v[144:147]// 0000000041D8: D3D70090 0E43CDA6
	ds_read_b128 v[192:195], v2                                // 0000000041E0: D9FE0000 C0000002
	v_mfma_i32_16x16x32_i8 v[144:147], a[168:169], v[232:233], v[144:147]// 0000000041E8: D3D70090 0E43D1A8
	v_mfma_i32_16x16x32_i8 v[144:147], a[170:171], v[234:235], v[144:147]// 0000000041F0: D3D70090 0E43D5AA
	buffer_load_dwordx4 a[36:39], v36, s[24:27], 0 offen offset:1024// 0000000041F8: E05C1400 80862424
	v_mfma_i32_16x16x32_i8 v[144:147], a[172:173], v[236:237], v[144:147]// 000000004200: D3D70090 0E43D9AC
	v_mfma_i32_16x16x32_i8 v[144:147], a[174:175], v[238:239], v[144:147]// 000000004208: D3D70090 0E43DDAE
	ds_read_b128 v[196:199], v2 offset:64                      // 000000004210: D9FE0040 C4000002
	v_mfma_i32_16x16x32_i8 v[148:151], a[160:161], v[240:241], v[148:151]// 000000004218: D3D70094 0E53E1A0
	v_mfma_i32_16x16x32_i8 v[148:151], a[162:163], v[242:243], v[148:151]// 000000004220: D3D70094 0E53E5A2
	buffer_load_dwordx4 a[40:43], v36, s[24:27], 0 offen offset:2048// 000000004228: E05C1800 80862824
	v_mfma_i32_16x16x32_i8 v[148:151], a[164:165], v[244:245], v[148:151]// 000000004230: D3D70094 0E53E9A4
	v_mfma_i32_16x16x32_i8 v[148:151], a[166:167], v[246:247], v[148:151]// 000000004238: D3D70094 0E53EDA6
	ds_read_b128 v[200:203], v2 offset:128                     // 000000004240: D9FE0080 C8000002
	v_mfma_i32_16x16x32_i8 v[148:151], a[168:169], v[248:249], v[148:151]// 000000004248: D3D70094 0E53F1A8
	v_mfma_i32_16x16x32_i8 v[148:151], a[170:171], v[250:251], v[148:151]// 000000004250: D3D70094 0E53F5AA
	buffer_load_dwordx4 a[44:47], v36, s[24:27], 0 offen offset:3072// 000000004258: E05C1C00 80862C24
	v_mfma_i32_16x16x32_i8 v[148:151], a[172:173], v[252:253], v[148:151]// 000000004260: D3D70094 0E53F9AC
	v_mfma_i32_16x16x32_i8 v[148:151], a[174:175], v[254:255], v[148:151]// 000000004268: D3D70094 0E53FDAE
	ds_read_b128 v[204:207], v2 offset:192                     // 000000004270: D9FE00C0 CC000002
	v_mfma_i32_16x16x32_i8 v[152:155], a[176:177], v[224:225], v[152:155]// 000000004278: D3D70098 0E63C1B0
	v_mfma_i32_16x16x32_i8 v[152:155], a[178:179], v[226:227], v[152:155]// 000000004280: D3D70098 0E63C5B2
	buffer_load_dwordx4 a[48:51], v37, s[24:27], 0 offen       // 000000004288: E05C1000 80863025
	v_mfma_i32_16x16x32_i8 v[152:155], a[180:181], v[228:229], v[152:155]// 000000004290: D3D70098 0E63C9B4
	v_mfma_i32_16x16x32_i8 v[152:155], a[182:183], v[230:231], v[152:155]// 000000004298: D3D70098 0E63CDB6
	ds_read_b128 v[208:211], v2 offset:1024                    // 0000000042A0: D9FE0400 D0000002
	v_mfma_i32_16x16x32_i8 v[152:155], a[184:185], v[232:233], v[152:155]// 0000000042A8: D3D70098 0E63D1B8
	v_mfma_i32_16x16x32_i8 v[152:155], a[186:187], v[234:235], v[152:155]// 0000000042B0: D3D70098 0E63D5BA
	buffer_load_dwordx4 a[52:55], v37, s[24:27], 0 offen offset:1024// 0000000042B8: E05C1400 80863425
	v_mfma_i32_16x16x32_i8 v[152:155], a[188:189], v[236:237], v[152:155]// 0000000042C0: D3D70098 0E63D9BC
	v_mfma_i32_16x16x32_i8 v[152:155], a[190:191], v[238:239], v[152:155]// 0000000042C8: D3D70098 0E63DDBE
	ds_read_b128 v[212:215], v2 offset:1088                    // 0000000042D0: D9FE0440 D4000002
	v_mfma_i32_16x16x32_i8 v[156:159], a[176:177], v[240:241], v[156:159]// 0000000042D8: D3D7009C 0E73E1B0
	v_mfma_i32_16x16x32_i8 v[156:159], a[178:179], v[242:243], v[156:159]// 0000000042E0: D3D7009C 0E73E5B2
	buffer_load_dwordx4 a[56:59], v37, s[24:27], 0 offen offset:2048// 0000000042E8: E05C1800 80863825
	v_mfma_i32_16x16x32_i8 v[156:159], a[180:181], v[244:245], v[156:159]// 0000000042F0: D3D7009C 0E73E9B4
	v_mfma_i32_16x16x32_i8 v[156:159], a[182:183], v[246:247], v[156:159]// 0000000042F8: D3D7009C 0E73EDB6
	ds_read_b128 v[216:219], v2 offset:1152                    // 000000004300: D9FE0480 D8000002
	v_mfma_i32_16x16x32_i8 v[156:159], a[184:185], v[248:249], v[156:159]// 000000004308: D3D7009C 0E73F1B8
	v_mfma_i32_16x16x32_i8 v[156:159], a[186:187], v[250:251], v[156:159]// 000000004310: D3D7009C 0E73F5BA
	buffer_load_dwordx4 a[60:63], v37, s[24:27], 0 offen offset:3072// 000000004318: E05C1C00 80863C25
	v_mfma_i32_16x16x32_i8 v[156:159], a[188:189], v[252:253], v[156:159]// 000000004320: D3D7009C 0E73F9BC
	v_mfma_i32_16x16x32_i8 v[156:159], a[190:191], v[254:255], v[156:159]// 000000004328: D3D7009C 0E73FDBE
	ds_read_b128 v[220:223], v2 offset:1216                    // 000000004330: D9FE04C0 DC000002
	s_waitcnt vmcnt(32)                                        // 000000004338: BF8C8F70
	v_mfma_i32_16x16x32_i8 v[160:163], a[192:193], v[224:225], v[160:163]// 00000000433C: D3D700A0 0E83C1C0
	v_mfma_i32_16x16x32_i8 v[160:163], a[194:195], v[226:227], v[160:163]// 000000004344: D3D700A0 0E83C5C2
	buffer_load_dwordx4 a[64:67], v38, s[24:27], 0 offen       // 00000000434C: E05C1000 80864026
	v_mfma_i32_16x16x32_i8 v[160:163], a[196:197], v[228:229], v[160:163]// 000000004354: D3D700A0 0E83C9C4
	s_add_u32 s60, 0x300, s80                                  // 00000000435C: 803C50FF 00000300
	s_cmp_lt_u32 s60, s81                                      // 000000004364: BF0A513C
	s_cselect_b32 s57, s57, 0                                  // 000000004368: 85398039
	v_mfma_i32_16x16x32_i8 v[160:163], a[198:199], v[230:231], v[160:163]// 00000000436C: D3D700A0 0E83CDC6
	v_mfma_i32_16x16x32_i8 v[160:163], a[200:201], v[232:233], v[160:163]// 000000004374: D3D700A0 0E83D1C8
	v_mfma_i32_16x16x32_i8 v[160:163], a[202:203], v[234:235], v[160:163]// 00000000437C: D3D700A0 0E83D5CA
	buffer_load_dwordx4 a[68:71], v38, s[24:27], 0 offen offset:1024// 000000004384: E05C1400 80864426
	v_mfma_i32_16x16x32_i8 v[160:163], a[204:205], v[236:237], v[160:163]// 00000000438C: D3D700A0 0E83D9CC
	s_add_u32 s60, 0x200, s80                                  // 000000004394: 803C50FF 00000200
	s_cmp_lt_u32 s60, s81                                      // 00000000439C: BF0A513C
	s_cselect_b32 s58, s58, 0                                  // 0000000043A0: 853A803A
	v_mfma_i32_16x16x32_i8 v[160:163], a[206:207], v[238:239], v[160:163]// 0000000043A4: D3D700A0 0E83DDCE
	v_mfma_i32_16x16x32_i8 v[164:167], a[192:193], v[240:241], v[164:167]// 0000000043AC: D3D700A4 0E93E1C0
	v_mfma_i32_16x16x32_i8 v[164:167], a[194:195], v[242:243], v[164:167]// 0000000043B4: D3D700A4 0E93E5C2
	buffer_load_dwordx4 a[72:75], v38, s[24:27], 0 offen offset:2048// 0000000043BC: E05C1800 80864826
	v_mfma_i32_16x16x32_i8 v[164:167], a[196:197], v[244:245], v[164:167]// 0000000043C4: D3D700A4 0E93E9C4
	s_add_u32 s20, s57, s20                                    // 0000000043CC: 80141439
	s_addc_u32 s21, 0, s21                                     // 0000000043D0: 82151580
	v_mfma_i32_16x16x32_i8 v[164:167], a[198:199], v[246:247], v[164:167]// 0000000043D4: D3D700A4 0E93EDC6
	v_mfma_i32_16x16x32_i8 v[164:167], a[200:201], v[248:249], v[164:167]// 0000000043DC: D3D700A4 0E93F1C8
	v_mfma_i32_16x16x32_i8 v[164:167], a[202:203], v[250:251], v[164:167]// 0000000043E4: D3D700A4 0E93F5CA
	buffer_load_dwordx4 a[76:79], v38, s[24:27], 0 offen offset:3072// 0000000043EC: E05C1C00 80864C26
	v_mfma_i32_16x16x32_i8 v[164:167], a[204:205], v[252:253], v[164:167]// 0000000043F4: D3D700A4 0E93F9CC
	v_mfma_i32_16x16x32_i8 v[164:167], a[206:207], v[254:255], v[164:167]// 0000000043FC: D3D700A4 0E93FDCE
	v_mfma_i32_16x16x32_i8 v[168:171], a[208:209], v[224:225], v[168:171]// 000000004404: D3D700A8 0EA3C1D0
	v_mfma_i32_16x16x32_i8 v[168:171], a[210:211], v[226:227], v[168:171]// 00000000440C: D3D700A8 0EA3C5D2
	buffer_load_dwordx4 a[80:83], v39, s[24:27], 0 offen       // 000000004414: E05C1000 80865027
	v_mfma_i32_16x16x32_i8 v[168:171], a[212:213], v[228:229], v[168:171]// 00000000441C: D3D700A8 0EA3C9D4
	v_mfma_i32_16x16x32_i8 v[168:171], a[214:215], v[230:231], v[168:171]// 000000004424: D3D700A8 0EA3CDD6
	v_mfma_i32_16x16x32_i8 v[168:171], a[216:217], v[232:233], v[168:171]// 00000000442C: D3D700A8 0EA3D1D8
	v_mfma_i32_16x16x32_i8 v[168:171], a[218:219], v[234:235], v[168:171]// 000000004434: D3D700A8 0EA3D5DA
	buffer_load_dwordx4 a[84:87], v39, s[24:27], 0 offen offset:1024// 00000000443C: E05C1400 80865427
	v_mfma_i32_16x16x32_i8 v[168:171], a[220:221], v[236:237], v[168:171]// 000000004444: D3D700A8 0EA3D9DC
	v_mfma_i32_16x16x32_i8 v[168:171], a[222:223], v[238:239], v[168:171]// 00000000444C: D3D700A8 0EA3DDDE
	v_mfma_i32_16x16x32_i8 v[172:175], a[208:209], v[240:241], v[172:175]// 000000004454: D3D700AC 0EB3E1D0
	v_mfma_i32_16x16x32_i8 v[172:175], a[210:211], v[242:243], v[172:175]// 00000000445C: D3D700AC 0EB3E5D2
	buffer_load_dwordx4 a[88:91], v39, s[24:27], 0 offen offset:2048// 000000004464: E05C1800 80865827
	v_mfma_i32_16x16x32_i8 v[172:175], a[212:213], v[244:245], v[172:175]// 00000000446C: D3D700AC 0EB3E9D4
	v_mfma_i32_16x16x32_i8 v[172:175], a[214:215], v[246:247], v[172:175]// 000000004474: D3D700AC 0EB3EDD6
	v_mfma_i32_16x16x32_i8 v[172:175], a[216:217], v[248:249], v[172:175]// 00000000447C: D3D700AC 0EB3F1D8
	v_mfma_i32_16x16x32_i8 v[172:175], a[218:219], v[250:251], v[172:175]// 000000004484: D3D700AC 0EB3F5DA
	buffer_load_dwordx4 a[92:95], v39, s[24:27], 0 offen offset:3072// 00000000448C: E05C1C00 80865C27
	v_mfma_i32_16x16x32_i8 v[172:175], a[220:221], v[252:253], v[172:175]// 000000004494: D3D700AC 0EB3F9DC
	v_mfma_i32_16x16x32_i8 v[172:175], a[222:223], v[254:255], v[172:175]// 00000000449C: D3D700AC 0EB3FDDE
	s_waitcnt vmcnt(32)                                        // 0000000044A4: BF8C8F70
	v_mfma_i32_16x16x32_i8 v[176:179], a[224:225], v[224:225], v[176:179]// 0000000044A8: D3D700B0 0EC3C1E0
	v_mfma_i32_16x16x32_i8 v[176:179], a[226:227], v[226:227], v[176:179]// 0000000044B0: D3D700B0 0EC3C5E2
	buffer_load_dwordx4 a[96:99], v40, s[24:27], 0 offen       // 0000000044B8: E05C1000 80866028
	v_mfma_i32_16x16x32_i8 v[176:179], a[228:229], v[228:229], v[176:179]// 0000000044C0: D3D700B0 0EC3C9E4
	v_mfma_i32_16x16x32_i8 v[176:179], a[230:231], v[230:231], v[176:179]// 0000000044C8: D3D700B0 0EC3CDE6
	v_mfma_i32_16x16x32_i8 v[176:179], a[232:233], v[232:233], v[176:179]// 0000000044D0: D3D700B0 0EC3D1E8
	v_mfma_i32_16x16x32_i8 v[176:179], a[234:235], v[234:235], v[176:179]// 0000000044D8: D3D700B0 0EC3D5EA
	buffer_load_dwordx4 a[100:103], v40, s[24:27], 0 offen offset:1024// 0000000044E0: E05C1400 80866428
	v_mfma_i32_16x16x32_i8 v[176:179], a[236:237], v[236:237], v[176:179]// 0000000044E8: D3D700B0 0EC3D9EC
	v_mfma_i32_16x16x32_i8 v[176:179], a[238:239], v[238:239], v[176:179]// 0000000044F0: D3D700B0 0EC3DDEE
	v_mfma_i32_16x16x32_i8 v[180:183], a[224:225], v[240:241], v[180:183]// 0000000044F8: D3D700B4 0ED3E1E0
	v_mfma_i32_16x16x32_i8 v[180:183], a[226:227], v[242:243], v[180:183]// 000000004500: D3D700B4 0ED3E5E2
	buffer_load_dwordx4 a[104:107], v40, s[24:27], 0 offen offset:2048// 000000004508: E05C1800 80866828
	v_mfma_i32_16x16x32_i8 v[180:183], a[228:229], v[244:245], v[180:183]// 000000004510: D3D700B4 0ED3E9E4
	v_mfma_i32_16x16x32_i8 v[180:183], a[230:231], v[246:247], v[180:183]// 000000004518: D3D700B4 0ED3EDE6
	v_mfma_i32_16x16x32_i8 v[180:183], a[232:233], v[248:249], v[180:183]// 000000004520: D3D700B4 0ED3F1E8
	v_mfma_i32_16x16x32_i8 v[180:183], a[234:235], v[250:251], v[180:183]// 000000004528: D3D700B4 0ED3F5EA
	buffer_load_dwordx4 a[108:111], v40, s[24:27], 0 offen offset:3072// 000000004530: E05C1C00 80866C28
	v_mfma_i32_16x16x32_i8 v[180:183], a[236:237], v[252:253], v[180:183]// 000000004538: D3D700B4 0ED3F9EC
	v_mfma_i32_16x16x32_i8 v[180:183], a[238:239], v[254:255], v[180:183]// 000000004540: D3D700B4 0ED3FDEE
	v_mfma_i32_16x16x32_i8 v[184:187], a[240:241], v[224:225], v[184:187]// 000000004548: D3D700B8 0EE3C1F0
	v_mfma_i32_16x16x32_i8 v[184:187], a[242:243], v[226:227], v[184:187]// 000000004550: D3D700B8 0EE3C5F2
	buffer_load_dwordx4 a[112:115], v41, s[24:27], 0 offen     // 000000004558: E05C1000 80867029
	v_mfma_i32_16x16x32_i8 v[184:187], a[244:245], v[228:229], v[184:187]// 000000004560: D3D700B8 0EE3C9F4
	v_mfma_i32_16x16x32_i8 v[184:187], a[246:247], v[230:231], v[184:187]// 000000004568: D3D700B8 0EE3CDF6
	v_mfma_i32_16x16x32_i8 v[184:187], a[248:249], v[232:233], v[184:187]// 000000004570: D3D700B8 0EE3D1F8
	v_mfma_i32_16x16x32_i8 v[184:187], a[250:251], v[234:235], v[184:187]// 000000004578: D3D700B8 0EE3D5FA
	buffer_load_dwordx4 a[116:119], v41, s[24:27], 0 offen offset:1024// 000000004580: E05C1400 80867429
	v_mfma_i32_16x16x32_i8 v[184:187], a[252:253], v[236:237], v[184:187]// 000000004588: D3D700B8 0EE3D9FC
	v_mfma_i32_16x16x32_i8 v[184:187], a[254:255], v[238:239], v[184:187]// 000000004590: D3D700B8 0EE3DDFE
	v_mfma_i32_16x16x32_i8 v[188:191], a[240:241], v[240:241], v[188:191]// 000000004598: D3D700BC 0EF3E1F0
	v_mfma_i32_16x16x32_i8 v[188:191], a[242:243], v[242:243], v[188:191]// 0000000045A0: D3D700BC 0EF3E5F2
	buffer_load_dwordx4 a[120:123], v41, s[24:27], 0 offen offset:2048// 0000000045A8: E05C1800 80867829
	v_mfma_i32_16x16x32_i8 v[188:191], a[244:245], v[244:245], v[188:191]// 0000000045B0: D3D700BC 0EF3E9F4
	v_mfma_i32_16x16x32_i8 v[188:191], a[246:247], v[246:247], v[188:191]// 0000000045B8: D3D700BC 0EF3EDF6
	v_mfma_i32_16x16x32_i8 v[188:191], a[248:249], v[248:249], v[188:191]// 0000000045C0: D3D700BC 0EF3F1F8
	v_mfma_i32_16x16x32_i8 v[188:191], a[250:251], v[250:251], v[188:191]// 0000000045C8: D3D700BC 0EF3F5FA
	buffer_load_dwordx4 a[124:127], v41, s[24:27], 0 offen offset:3072// 0000000045D0: E05C1C00 80867C29
	v_mfma_i32_16x16x32_i8 v[188:191], a[252:253], v[252:253], v[188:191]// 0000000045D8: D3D700BC 0EF3F9FC
	s_add_u32 s24, s58, s24                                    // 0000000045E0: 8018183A
	s_addc_u32 s25, 0, s25                                     // 0000000045E4: 82191980
	v_mfma_i32_16x16x32_i8 v[188:191], a[254:255], v[254:255], v[188:191]// 0000000045E8: D3D700BC 0EF3FDFE
	s_addk_i32 s80, 0x100                                      // 0000000045F0: B7500100
	s_cmp_lt_i32 s80, s81                                      // 0000000045F4: BF045150
	s_cbranch_scc0 label_0600                                  // 0000000045F8: BF840001
	s_branch label_02F9                                        // 0000000045FC: BF82FCF9

0000000000004600 <label_0600>:
	s_mov_b32 s20, 0                                           // 000000004600: BE940080
	s_cmp_lt_u32 s91, s66                                      // 000000004604: BF0A425B
	s_cselect_b32 s60, 0, 1                                    // 000000004608: 853C8180
	s_lshl1_add_u32 s20, s20, s60                              // 00000000460C: 97143C14
	s_cmp_lt_u32 s90, s66                                      // 000000004610: BF0A425A
	s_cselect_b32 s60, 0, 1                                    // 000000004614: 853C8180
	s_lshl1_add_u32 s20, s20, s60                              // 000000004618: 97143C14
	s_cmp_lt_u32 s89, s66                                      // 00000000461C: BF0A4259
	s_cselect_b32 s60, 0, 1                                    // 000000004620: 853C8180
	s_lshl1_add_u32 s20, s20, s60                              // 000000004624: 97143C14
	s_cmp_lt_u32 s88, s66                                      // 000000004628: BF0A4258
	s_cselect_b32 s60, 0, 1                                    // 00000000462C: 853C8180
	s_lshl1_add_u32 s20, s20, s60                              // 000000004630: 97143C14
	s_cmp_lt_u32 s87, s66                                      // 000000004634: BF0A4257
	s_cselect_b32 s60, 0, 1                                    // 000000004638: 853C8180
	s_lshl1_add_u32 s20, s20, s60                              // 00000000463C: 97143C14
	s_cmp_lt_u32 s86, s66                                      // 000000004640: BF0A4256
	s_cselect_b32 s60, 0, 1                                    // 000000004644: 853C8180
	s_lshl1_add_u32 s20, s20, s60                              // 000000004648: 97143C14
	s_cmp_lt_u32 s85, s66                                      // 00000000464C: BF0A4255
	s_cselect_b32 s60, 0, 1                                    // 000000004650: 853C8180
	s_lshl1_add_u32 s20, s20, s60                              // 000000004654: 97143C14
	s_cmp_lt_u32 s84, s66                                      // 000000004658: BF0A4254
	s_cselect_b32 s60, 0, 1                                    // 00000000465C: 853C8180
	s_lshl1_add_u32 s20, s20, s60                              // 000000004660: 97143C14
	v_cvt_f32_i32_e32 v128, v128                               // 000000004664: 7F000B80
	v_cvt_f32_i32_e32 v129, v129                               // 000000004668: 7F020B81
	v_cvt_f32_i32_e32 v130, v130                               // 00000000466C: 7F040B82
	v_cvt_f32_i32_e32 v131, v131                               // 000000004670: 7F060B83
	v_mul_f32_e32 v128, v14, v128                              // 000000004674: 0B01010E
	v_mul_f32_e32 v129, v14, v129                              // 000000004678: 0B03030E
	v_mul_f32_e32 v130, v14, v130                              // 00000000467C: 0B05050E
	v_mul_f32_e32 v131, v14, v131                              // 000000004680: 0B07070E
	v_mul_f32_dpp v128, v16, v128 row_newbcast:0 row_mask:0xf bank_mask:0xf// 000000004684: 0B0100FA FF015010
	v_mul_f32_dpp v129, v16, v129 row_newbcast:1 row_mask:0xf bank_mask:0xf// 00000000468C: 0B0302FA FF015110
	v_mul_f32_dpp v130, v16, v130 row_newbcast:2 row_mask:0xf bank_mask:0xf// 000000004694: 0B0504FA FF015210
	v_mul_f32_dpp v131, v16, v131 row_newbcast:3 row_mask:0xf bank_mask:0xf// 00000000469C: 0B0706FA FF015310
	v_cvt_f32_i32_e32 v132, v132                               // 0000000046A4: 7F080B84
	v_cvt_f32_i32_e32 v133, v133                               // 0000000046A8: 7F0A0B85
	v_cvt_f32_i32_e32 v134, v134                               // 0000000046AC: 7F0C0B86
	v_cvt_f32_i32_e32 v135, v135                               // 0000000046B0: 7F0E0B87
	v_mul_f32_e32 v132, v15, v132                              // 0000000046B4: 0B09090F
	v_mul_f32_e32 v133, v15, v133                              // 0000000046B8: 0B0B0B0F
	v_mul_f32_e32 v134, v15, v134                              // 0000000046BC: 0B0D0D0F
	v_mul_f32_e32 v135, v15, v135                              // 0000000046C0: 0B0F0F0F
	v_mul_f32_dpp v132, v16, v132 row_newbcast:0 row_mask:0xf bank_mask:0xf// 0000000046C4: 0B0908FA FF015010
	v_mul_f32_dpp v133, v16, v133 row_newbcast:1 row_mask:0xf bank_mask:0xf// 0000000046CC: 0B0B0AFA FF015110
	v_mul_f32_dpp v134, v16, v134 row_newbcast:2 row_mask:0xf bank_mask:0xf// 0000000046D4: 0B0D0CFA FF015210
	v_mul_f32_dpp v135, v16, v135 row_newbcast:3 row_mask:0xf bank_mask:0xf// 0000000046DC: 0B0F0EFA FF015310
	v_cvt_f32_i32_e32 v136, v136                               // 0000000046E4: 7F100B88
	v_cvt_f32_i32_e32 v137, v137                               // 0000000046E8: 7F120B89
	v_cvt_f32_i32_e32 v138, v138                               // 0000000046EC: 7F140B8A
	v_cvt_f32_i32_e32 v139, v139                               // 0000000046F0: 7F160B8B
	v_mul_f32_e32 v136, v14, v136                              // 0000000046F4: 0B11110E
	v_mul_f32_e32 v137, v14, v137                              // 0000000046F8: 0B13130E
	v_mul_f32_e32 v138, v14, v138                              // 0000000046FC: 0B15150E
	v_mul_f32_e32 v139, v14, v139                              // 000000004700: 0B17170E
	v_mul_f32_dpp v136, v16, v136 row_newbcast:4 row_mask:0xf bank_mask:0xf// 000000004704: 0B1110FA FF015410
	v_mul_f32_dpp v137, v16, v137 row_newbcast:5 row_mask:0xf bank_mask:0xf// 00000000470C: 0B1312FA FF015510
	v_mul_f32_dpp v138, v16, v138 row_newbcast:6 row_mask:0xf bank_mask:0xf// 000000004714: 0B1514FA FF015610
	v_mul_f32_dpp v139, v16, v139 row_newbcast:7 row_mask:0xf bank_mask:0xf// 00000000471C: 0B1716FA FF015710
	v_cvt_f32_i32_e32 v140, v140                               // 000000004724: 7F180B8C
	v_cvt_f32_i32_e32 v141, v141                               // 000000004728: 7F1A0B8D
	v_cvt_f32_i32_e32 v142, v142                               // 00000000472C: 7F1C0B8E
	v_cvt_f32_i32_e32 v143, v143                               // 000000004730: 7F1E0B8F
	v_mul_f32_e32 v140, v15, v140                              // 000000004734: 0B19190F
	v_mul_f32_e32 v141, v15, v141                              // 000000004738: 0B1B1B0F
	v_mul_f32_e32 v142, v15, v142                              // 00000000473C: 0B1D1D0F
	v_mul_f32_e32 v143, v15, v143                              // 000000004740: 0B1F1F0F
	v_mul_f32_dpp v140, v16, v140 row_newbcast:4 row_mask:0xf bank_mask:0xf// 000000004744: 0B1918FA FF015410
	v_mul_f32_dpp v141, v16, v141 row_newbcast:5 row_mask:0xf bank_mask:0xf// 00000000474C: 0B1B1AFA FF015510
	v_mul_f32_dpp v142, v16, v142 row_newbcast:6 row_mask:0xf bank_mask:0xf// 000000004754: 0B1D1CFA FF015610
	v_mul_f32_dpp v143, v16, v143 row_newbcast:7 row_mask:0xf bank_mask:0xf// 00000000475C: 0B1F1EFA FF015710
	v_cvt_f32_i32_e32 v144, v144                               // 000000004764: 7F200B90
	v_cvt_f32_i32_e32 v145, v145                               // 000000004768: 7F220B91
	v_cvt_f32_i32_e32 v146, v146                               // 00000000476C: 7F240B92
	v_cvt_f32_i32_e32 v147, v147                               // 000000004770: 7F260B93
	v_mul_f32_e32 v144, v14, v144                              // 000000004774: 0B21210E
	v_mul_f32_e32 v145, v14, v145                              // 000000004778: 0B23230E
	v_mul_f32_e32 v146, v14, v146                              // 00000000477C: 0B25250E
	v_mul_f32_e32 v147, v14, v147                              // 000000004780: 0B27270E
	v_mul_f32_dpp v144, v16, v144 row_newbcast:8 row_mask:0xf bank_mask:0xf// 000000004784: 0B2120FA FF015810
	v_mul_f32_dpp v145, v16, v145 row_newbcast:9 row_mask:0xf bank_mask:0xf// 00000000478C: 0B2322FA FF015910
	v_mul_f32_dpp v146, v16, v146 row_newbcast:10 row_mask:0xf bank_mask:0xf// 000000004794: 0B2524FA FF015A10
	v_mul_f32_dpp v147, v16, v147 row_newbcast:11 row_mask:0xf bank_mask:0xf// 00000000479C: 0B2726FA FF015B10
	v_cvt_f32_i32_e32 v148, v148                               // 0000000047A4: 7F280B94
	v_cvt_f32_i32_e32 v149, v149                               // 0000000047A8: 7F2A0B95
	v_cvt_f32_i32_e32 v150, v150                               // 0000000047AC: 7F2C0B96
	v_cvt_f32_i32_e32 v151, v151                               // 0000000047B0: 7F2E0B97
	v_mul_f32_e32 v148, v15, v148                              // 0000000047B4: 0B29290F
	v_mul_f32_e32 v149, v15, v149                              // 0000000047B8: 0B2B2B0F
	v_mul_f32_e32 v150, v15, v150                              // 0000000047BC: 0B2D2D0F
	v_mul_f32_e32 v151, v15, v151                              // 0000000047C0: 0B2F2F0F
	v_mul_f32_dpp v148, v16, v148 row_newbcast:8 row_mask:0xf bank_mask:0xf// 0000000047C4: 0B2928FA FF015810
	v_mul_f32_dpp v149, v16, v149 row_newbcast:9 row_mask:0xf bank_mask:0xf// 0000000047CC: 0B2B2AFA FF015910
	v_mul_f32_dpp v150, v16, v150 row_newbcast:10 row_mask:0xf bank_mask:0xf// 0000000047D4: 0B2D2CFA FF015A10
	v_mul_f32_dpp v151, v16, v151 row_newbcast:11 row_mask:0xf bank_mask:0xf// 0000000047DC: 0B2F2EFA FF015B10
	v_cvt_f32_i32_e32 v152, v152                               // 0000000047E4: 7F300B98
	v_cvt_f32_i32_e32 v153, v153                               // 0000000047E8: 7F320B99
	v_cvt_f32_i32_e32 v154, v154                               // 0000000047EC: 7F340B9A
	v_cvt_f32_i32_e32 v155, v155                               // 0000000047F0: 7F360B9B
	v_mul_f32_e32 v152, v14, v152                              // 0000000047F4: 0B31310E
	v_mul_f32_e32 v153, v14, v153                              // 0000000047F8: 0B33330E
	v_mul_f32_e32 v154, v14, v154                              // 0000000047FC: 0B35350E
	v_mul_f32_e32 v155, v14, v155                              // 000000004800: 0B37370E
	v_mul_f32_dpp v152, v16, v152 row_newbcast:12 row_mask:0xf bank_mask:0xf// 000000004804: 0B3130FA FF015C10
	v_mul_f32_dpp v153, v16, v153 row_newbcast:13 row_mask:0xf bank_mask:0xf// 00000000480C: 0B3332FA FF015D10
	v_mul_f32_dpp v154, v16, v154 row_newbcast:14 row_mask:0xf bank_mask:0xf// 000000004814: 0B3534FA FF015E10
	v_mul_f32_dpp v155, v16, v155 row_newbcast:15 row_mask:0xf bank_mask:0xf// 00000000481C: 0B3736FA FF015F10
	v_cvt_f32_i32_e32 v156, v156                               // 000000004824: 7F380B9C
	v_cvt_f32_i32_e32 v157, v157                               // 000000004828: 7F3A0B9D
	v_cvt_f32_i32_e32 v158, v158                               // 00000000482C: 7F3C0B9E
	v_cvt_f32_i32_e32 v159, v159                               // 000000004830: 7F3E0B9F
	v_mul_f32_e32 v156, v15, v156                              // 000000004834: 0B39390F
	v_mul_f32_e32 v157, v15, v157                              // 000000004838: 0B3B3B0F
	v_mul_f32_e32 v158, v15, v158                              // 00000000483C: 0B3D3D0F
	v_mul_f32_e32 v159, v15, v159                              // 000000004840: 0B3F3F0F
	v_mul_f32_dpp v156, v16, v156 row_newbcast:12 row_mask:0xf bank_mask:0xf// 000000004844: 0B3938FA FF015C10
	v_mul_f32_dpp v157, v16, v157 row_newbcast:13 row_mask:0xf bank_mask:0xf// 00000000484C: 0B3B3AFA FF015D10
	v_mul_f32_dpp v158, v16, v158 row_newbcast:14 row_mask:0xf bank_mask:0xf// 000000004854: 0B3D3CFA FF015E10
	v_mul_f32_dpp v159, v16, v159 row_newbcast:15 row_mask:0xf bank_mask:0xf// 00000000485C: 0B3F3EFA FF015F10
	v_cvt_f32_i32_e32 v160, v160                               // 000000004864: 7F400BA0
	v_cvt_f32_i32_e32 v161, v161                               // 000000004868: 7F420BA1
	v_cvt_f32_i32_e32 v162, v162                               // 00000000486C: 7F440BA2
	v_cvt_f32_i32_e32 v163, v163                               // 000000004870: 7F460BA3
	v_mul_f32_e32 v160, v14, v160                              // 000000004874: 0B41410E
	v_mul_f32_e32 v161, v14, v161                              // 000000004878: 0B43430E
	v_mul_f32_e32 v162, v14, v162                              // 00000000487C: 0B45450E
	v_mul_f32_e32 v163, v14, v163                              // 000000004880: 0B47470E
	v_mul_f32_dpp v160, v17, v160 row_newbcast:0 row_mask:0xf bank_mask:0xf// 000000004884: 0B4140FA FF015011
	v_mul_f32_dpp v161, v17, v161 row_newbcast:1 row_mask:0xf bank_mask:0xf// 00000000488C: 0B4342FA FF015111
	v_mul_f32_dpp v162, v17, v162 row_newbcast:2 row_mask:0xf bank_mask:0xf// 000000004894: 0B4544FA FF015211
	v_mul_f32_dpp v163, v17, v163 row_newbcast:3 row_mask:0xf bank_mask:0xf// 00000000489C: 0B4746FA FF015311
	v_cvt_f32_i32_e32 v164, v164                               // 0000000048A4: 7F480BA4
	v_cvt_f32_i32_e32 v165, v165                               // 0000000048A8: 7F4A0BA5
	v_cvt_f32_i32_e32 v166, v166                               // 0000000048AC: 7F4C0BA6
	v_cvt_f32_i32_e32 v167, v167                               // 0000000048B0: 7F4E0BA7
	v_mul_f32_e32 v164, v15, v164                              // 0000000048B4: 0B49490F
	v_mul_f32_e32 v165, v15, v165                              // 0000000048B8: 0B4B4B0F
	v_mul_f32_e32 v166, v15, v166                              // 0000000048BC: 0B4D4D0F
	v_mul_f32_e32 v167, v15, v167                              // 0000000048C0: 0B4F4F0F
	v_mul_f32_dpp v164, v17, v164 row_newbcast:0 row_mask:0xf bank_mask:0xf// 0000000048C4: 0B4948FA FF015011
	v_mul_f32_dpp v165, v17, v165 row_newbcast:1 row_mask:0xf bank_mask:0xf// 0000000048CC: 0B4B4AFA FF015111
	v_mul_f32_dpp v166, v17, v166 row_newbcast:2 row_mask:0xf bank_mask:0xf// 0000000048D4: 0B4D4CFA FF015211
	v_mul_f32_dpp v167, v17, v167 row_newbcast:3 row_mask:0xf bank_mask:0xf// 0000000048DC: 0B4F4EFA FF015311
	v_cvt_f32_i32_e32 v168, v168                               // 0000000048E4: 7F500BA8
	v_cvt_f32_i32_e32 v169, v169                               // 0000000048E8: 7F520BA9
	v_cvt_f32_i32_e32 v170, v170                               // 0000000048EC: 7F540BAA
	v_cvt_f32_i32_e32 v171, v171                               // 0000000048F0: 7F560BAB
	v_mul_f32_e32 v168, v14, v168                              // 0000000048F4: 0B51510E
	v_mul_f32_e32 v169, v14, v169                              // 0000000048F8: 0B53530E
	v_mul_f32_e32 v170, v14, v170                              // 0000000048FC: 0B55550E
	v_mul_f32_e32 v171, v14, v171                              // 000000004900: 0B57570E
	v_mul_f32_dpp v168, v17, v168 row_newbcast:4 row_mask:0xf bank_mask:0xf// 000000004904: 0B5150FA FF015411
	v_mul_f32_dpp v169, v17, v169 row_newbcast:5 row_mask:0xf bank_mask:0xf// 00000000490C: 0B5352FA FF015511
	v_mul_f32_dpp v170, v17, v170 row_newbcast:6 row_mask:0xf bank_mask:0xf// 000000004914: 0B5554FA FF015611
	v_mul_f32_dpp v171, v17, v171 row_newbcast:7 row_mask:0xf bank_mask:0xf// 00000000491C: 0B5756FA FF015711
	v_cvt_f32_i32_e32 v172, v172                               // 000000004924: 7F580BAC
	v_cvt_f32_i32_e32 v173, v173                               // 000000004928: 7F5A0BAD
	v_cvt_f32_i32_e32 v174, v174                               // 00000000492C: 7F5C0BAE
	v_cvt_f32_i32_e32 v175, v175                               // 000000004930: 7F5E0BAF
	v_mul_f32_e32 v172, v15, v172                              // 000000004934: 0B59590F
	v_mul_f32_e32 v173, v15, v173                              // 000000004938: 0B5B5B0F
	v_mul_f32_e32 v174, v15, v174                              // 00000000493C: 0B5D5D0F
	v_mul_f32_e32 v175, v15, v175                              // 000000004940: 0B5F5F0F
	v_mul_f32_dpp v172, v17, v172 row_newbcast:4 row_mask:0xf bank_mask:0xf// 000000004944: 0B5958FA FF015411
	v_mul_f32_dpp v173, v17, v173 row_newbcast:5 row_mask:0xf bank_mask:0xf// 00000000494C: 0B5B5AFA FF015511
	v_mul_f32_dpp v174, v17, v174 row_newbcast:6 row_mask:0xf bank_mask:0xf// 000000004954: 0B5D5CFA FF015611
	v_mul_f32_dpp v175, v17, v175 row_newbcast:7 row_mask:0xf bank_mask:0xf// 00000000495C: 0B5F5EFA FF015711
	v_cvt_f32_i32_e32 v176, v176                               // 000000004964: 7F600BB0
	v_cvt_f32_i32_e32 v177, v177                               // 000000004968: 7F620BB1
	v_cvt_f32_i32_e32 v178, v178                               // 00000000496C: 7F640BB2
	v_cvt_f32_i32_e32 v179, v179                               // 000000004970: 7F660BB3
	v_mul_f32_e32 v176, v14, v176                              // 000000004974: 0B61610E
	v_mul_f32_e32 v177, v14, v177                              // 000000004978: 0B63630E
	v_mul_f32_e32 v178, v14, v178                              // 00000000497C: 0B65650E
	v_mul_f32_e32 v179, v14, v179                              // 000000004980: 0B67670E
	v_mul_f32_dpp v176, v17, v176 row_newbcast:8 row_mask:0xf bank_mask:0xf// 000000004984: 0B6160FA FF015811
	v_mul_f32_dpp v177, v17, v177 row_newbcast:9 row_mask:0xf bank_mask:0xf// 00000000498C: 0B6362FA FF015911
	v_mul_f32_dpp v178, v17, v178 row_newbcast:10 row_mask:0xf bank_mask:0xf// 000000004994: 0B6564FA FF015A11
	v_mul_f32_dpp v179, v17, v179 row_newbcast:11 row_mask:0xf bank_mask:0xf// 00000000499C: 0B6766FA FF015B11
	v_cvt_f32_i32_e32 v180, v180                               // 0000000049A4: 7F680BB4
	v_cvt_f32_i32_e32 v181, v181                               // 0000000049A8: 7F6A0BB5
	v_cvt_f32_i32_e32 v182, v182                               // 0000000049AC: 7F6C0BB6
	v_cvt_f32_i32_e32 v183, v183                               // 0000000049B0: 7F6E0BB7
	v_mul_f32_e32 v180, v15, v180                              // 0000000049B4: 0B69690F
	v_mul_f32_e32 v181, v15, v181                              // 0000000049B8: 0B6B6B0F
	v_mul_f32_e32 v182, v15, v182                              // 0000000049BC: 0B6D6D0F
	v_mul_f32_e32 v183, v15, v183                              // 0000000049C0: 0B6F6F0F
	v_mul_f32_dpp v180, v17, v180 row_newbcast:8 row_mask:0xf bank_mask:0xf// 0000000049C4: 0B6968FA FF015811
	v_mul_f32_dpp v181, v17, v181 row_newbcast:9 row_mask:0xf bank_mask:0xf// 0000000049CC: 0B6B6AFA FF015911
	v_mul_f32_dpp v182, v17, v182 row_newbcast:10 row_mask:0xf bank_mask:0xf// 0000000049D4: 0B6D6CFA FF015A11
	v_mul_f32_dpp v183, v17, v183 row_newbcast:11 row_mask:0xf bank_mask:0xf// 0000000049DC: 0B6F6EFA FF015B11
	v_cvt_f32_i32_e32 v184, v184                               // 0000000049E4: 7F700BB8
	v_cvt_f32_i32_e32 v185, v185                               // 0000000049E8: 7F720BB9
	v_cvt_f32_i32_e32 v186, v186                               // 0000000049EC: 7F740BBA
	v_cvt_f32_i32_e32 v187, v187                               // 0000000049F0: 7F760BBB
	v_mul_f32_e32 v184, v14, v184                              // 0000000049F4: 0B71710E
	v_mul_f32_e32 v185, v14, v185                              // 0000000049F8: 0B73730E
	v_mul_f32_e32 v186, v14, v186                              // 0000000049FC: 0B75750E
	v_mul_f32_e32 v187, v14, v187                              // 000000004A00: 0B77770E
	v_mul_f32_dpp v184, v17, v184 row_newbcast:12 row_mask:0xf bank_mask:0xf// 000000004A04: 0B7170FA FF015C11
	v_mul_f32_dpp v185, v17, v185 row_newbcast:13 row_mask:0xf bank_mask:0xf// 000000004A0C: 0B7372FA FF015D11
	v_mul_f32_dpp v186, v17, v186 row_newbcast:14 row_mask:0xf bank_mask:0xf// 000000004A14: 0B7574FA FF015E11
	v_mul_f32_dpp v187, v17, v187 row_newbcast:15 row_mask:0xf bank_mask:0xf// 000000004A1C: 0B7776FA FF015F11
	v_cvt_f32_i32_e32 v188, v188                               // 000000004A24: 7F780BBC
	v_cvt_f32_i32_e32 v189, v189                               // 000000004A28: 7F7A0BBD
	v_cvt_f32_i32_e32 v190, v190                               // 000000004A2C: 7F7C0BBE
	v_cvt_f32_i32_e32 v191, v191                               // 000000004A30: 7F7E0BBF
	v_mul_f32_e32 v188, v15, v188                              // 000000004A34: 0B79790F
	v_mul_f32_e32 v189, v15, v189                              // 000000004A38: 0B7B7B0F
	v_mul_f32_e32 v190, v15, v190                              // 000000004A3C: 0B7D7D0F
	v_mul_f32_e32 v191, v15, v191                              // 000000004A40: 0B7F7F0F
	v_mul_f32_dpp v188, v17, v188 row_newbcast:12 row_mask:0xf bank_mask:0xf// 000000004A44: 0B7978FA FF015C11
	v_mul_f32_dpp v189, v17, v189 row_newbcast:13 row_mask:0xf bank_mask:0xf// 000000004A4C: 0B7B7AFA FF015D11
	v_mul_f32_dpp v190, v17, v190 row_newbcast:14 row_mask:0xf bank_mask:0xf// 000000004A54: 0B7D7CFA FF015E11
	v_mul_f32_dpp v191, v17, v191 row_newbcast:15 row_mask:0xf bank_mask:0xf// 000000004A5C: 0B7F7EFA FF015F11
	s_waitcnt vmcnt(24)                                        // 000000004A64: BF8C4F78
	buffer_load_dwordx4 a[0:3], v42, s[12:15], 0 offen         // 000000004A68: E05C1000 8083002A
	v_mul_f32_e64 v54, -v128, s6                               // 000000004A70: D1050036 20000D80
	v_mul_f32_e64 v55, -v129, s6                               // 000000004A78: D1050037 20000D81
	v_mul_f32_e64 v56, -v130, s6                               // 000000004A80: D1050038 20000D82
	v_mul_f32_e64 v57, -v131, s6                               // 000000004A88: D1050039 20000D83
	v_exp_f32_e32 v54, v54                                     // 000000004A90: 7E6C4136
	v_exp_f32_e32 v55, v55                                     // 000000004A94: 7E6E4137
	v_exp_f32_e32 v56, v56                                     // 000000004A98: 7E704138
	v_exp_f32_e32 v57, v57                                     // 000000004A9C: 7E724139
	buffer_load_dwordx4 a[4:7], v42, s[12:15], 0 offen offset:1024// 000000004AA0: E05C1400 8083042A
	v_add_f32_e64 v54, v54, 1.0                                // 000000004AA8: D1010036 0001E536
	v_add_f32_e64 v55, v55, 1.0                                // 000000004AB0: D1010037 0001E537
	v_add_f32_e64 v56, v56, 1.0                                // 000000004AB8: D1010038 0001E538
	v_add_f32_e64 v57, v57, 1.0                                // 000000004AC0: D1010039 0001E539
	v_rcp_f32_e32 v54, v54                                     // 000000004AC8: 7E6C4536
	v_rcp_f32_e32 v55, v55                                     // 000000004ACC: 7E6E4537
	v_rcp_f32_e32 v56, v56                                     // 000000004AD0: 7E704538
	v_rcp_f32_e32 v57, v57                                     // 000000004AD4: 7E724539
	v_pk_mul_f32 v[128:129], v[128:129], v[54:55]              // 000000004AD8: D3B14080 18026D80
	v_pk_mul_f32 v[130:131], v[130:131], v[56:57]              // 000000004AE0: D3B14082 18027182
	buffer_load_dwordx4 a[8:11], v42, s[12:15], 0 offen offset:2048// 000000004AE8: E05C1800 8083082A
	v_mul_f32_e64 v54, -v132, s6                               // 000000004AF0: D1050036 20000D84
	v_mul_f32_e64 v55, -v133, s6                               // 000000004AF8: D1050037 20000D85
	v_mul_f32_e64 v56, -v134, s6                               // 000000004B00: D1050038 20000D86
	v_mul_f32_e64 v57, -v135, s6                               // 000000004B08: D1050039 20000D87
	v_exp_f32_e32 v54, v54                                     // 000000004B10: 7E6C4136
	v_exp_f32_e32 v55, v55                                     // 000000004B14: 7E6E4137
	v_exp_f32_e32 v56, v56                                     // 000000004B18: 7E704138
	v_exp_f32_e32 v57, v57                                     // 000000004B1C: 7E724139
	buffer_load_dwordx4 a[12:15], v42, s[12:15], 0 offen offset:3072// 000000004B20: E05C1C00 80830C2A
	v_add_f32_e64 v54, v54, 1.0                                // 000000004B28: D1010036 0001E536
	v_add_f32_e64 v55, v55, 1.0                                // 000000004B30: D1010037 0001E537
	v_add_f32_e64 v56, v56, 1.0                                // 000000004B38: D1010038 0001E538
	v_add_f32_e64 v57, v57, 1.0                                // 000000004B40: D1010039 0001E539
	v_rcp_f32_e32 v54, v54                                     // 000000004B48: 7E6C4536
	v_rcp_f32_e32 v55, v55                                     // 000000004B4C: 7E6E4537
	v_rcp_f32_e32 v56, v56                                     // 000000004B50: 7E704538
	v_rcp_f32_e32 v57, v57                                     // 000000004B54: 7E724539
	v_pk_mul_f32 v[132:133], v[132:133], v[54:55]              // 000000004B58: D3B14084 18026D84
	v_pk_mul_f32 v[134:135], v[134:135], v[56:57]              // 000000004B60: D3B14086 18027186
	buffer_load_dwordx4 a[16:19], v43, s[12:15], 0 offen       // 000000004B68: E05C1000 8083102B
	v_mul_f32_e64 v54, -v136, s6                               // 000000004B70: D1050036 20000D88
	v_mul_f32_e64 v55, -v137, s6                               // 000000004B78: D1050037 20000D89
	v_mul_f32_e64 v56, -v138, s6                               // 000000004B80: D1050038 20000D8A
	v_mul_f32_e64 v57, -v139, s6                               // 000000004B88: D1050039 20000D8B
	v_exp_f32_e32 v54, v54                                     // 000000004B90: 7E6C4136
	v_exp_f32_e32 v55, v55                                     // 000000004B94: 7E6E4137
	v_exp_f32_e32 v56, v56                                     // 000000004B98: 7E704138
	v_exp_f32_e32 v57, v57                                     // 000000004B9C: 7E724139
	buffer_load_dwordx4 a[20:23], v43, s[12:15], 0 offen offset:1024// 000000004BA0: E05C1400 8083142B
	v_add_f32_e64 v54, v54, 1.0                                // 000000004BA8: D1010036 0001E536
	v_add_f32_e64 v55, v55, 1.0                                // 000000004BB0: D1010037 0001E537
	v_add_f32_e64 v56, v56, 1.0                                // 000000004BB8: D1010038 0001E538
	v_add_f32_e64 v57, v57, 1.0                                // 000000004BC0: D1010039 0001E539
	v_rcp_f32_e32 v54, v54                                     // 000000004BC8: 7E6C4536
	v_rcp_f32_e32 v55, v55                                     // 000000004BCC: 7E6E4537
	v_rcp_f32_e32 v56, v56                                     // 000000004BD0: 7E704538
	v_rcp_f32_e32 v57, v57                                     // 000000004BD4: 7E724539
	v_pk_mul_f32 v[136:137], v[136:137], v[54:55]              // 000000004BD8: D3B14088 18026D88
	v_pk_mul_f32 v[138:139], v[138:139], v[56:57]              // 000000004BE0: D3B1408A 1802718A
	buffer_load_dwordx4 a[24:27], v43, s[12:15], 0 offen offset:2048// 000000004BE8: E05C1800 8083182B
	v_mul_f32_e64 v54, -v140, s6                               // 000000004BF0: D1050036 20000D8C
	v_mul_f32_e64 v55, -v141, s6                               // 000000004BF8: D1050037 20000D8D
	v_mul_f32_e64 v56, -v142, s6                               // 000000004C00: D1050038 20000D8E
	v_mul_f32_e64 v57, -v143, s6                               // 000000004C08: D1050039 20000D8F
	v_exp_f32_e32 v54, v54                                     // 000000004C10: 7E6C4136
	v_exp_f32_e32 v55, v55                                     // 000000004C14: 7E6E4137
	v_exp_f32_e32 v56, v56                                     // 000000004C18: 7E704138
	v_exp_f32_e32 v57, v57                                     // 000000004C1C: 7E724139
	buffer_load_dwordx4 a[28:31], v43, s[12:15], 0 offen offset:3072// 000000004C20: E05C1C00 80831C2B
	v_add_f32_e64 v54, v54, 1.0                                // 000000004C28: D1010036 0001E536
	v_add_f32_e64 v55, v55, 1.0                                // 000000004C30: D1010037 0001E537
	v_add_f32_e64 v56, v56, 1.0                                // 000000004C38: D1010038 0001E538
	v_add_f32_e64 v57, v57, 1.0                                // 000000004C40: D1010039 0001E539
	v_rcp_f32_e32 v54, v54                                     // 000000004C48: 7E6C4536
	v_rcp_f32_e32 v55, v55                                     // 000000004C4C: 7E6E4537
	v_rcp_f32_e32 v56, v56                                     // 000000004C50: 7E704538
	v_rcp_f32_e32 v57, v57                                     // 000000004C54: 7E724539
	v_pk_mul_f32 v[140:141], v[140:141], v[54:55]              // 000000004C58: D3B1408C 18026D8C
	v_pk_mul_f32 v[142:143], v[142:143], v[56:57]              // 000000004C60: D3B1408E 1802718E
	s_waitcnt vmcnt(24)                                        // 000000004C68: BF8C4F78
	buffer_load_dwordx4 a[32:35], v44, s[12:15], 0 offen       // 000000004C6C: E05C1000 8083202C
	v_mul_f32_e64 v54, -v144, s6                               // 000000004C74: D1050036 20000D90
	v_mul_f32_e64 v55, -v145, s6                               // 000000004C7C: D1050037 20000D91
	v_mul_f32_e64 v56, -v146, s6                               // 000000004C84: D1050038 20000D92
	v_mul_f32_e64 v57, -v147, s6                               // 000000004C8C: D1050039 20000D93
	v_exp_f32_e32 v54, v54                                     // 000000004C94: 7E6C4136
	v_exp_f32_e32 v55, v55                                     // 000000004C98: 7E6E4137
	v_exp_f32_e32 v56, v56                                     // 000000004C9C: 7E704138
	v_exp_f32_e32 v57, v57                                     // 000000004CA0: 7E724139
	buffer_load_dwordx4 a[36:39], v44, s[12:15], 0 offen offset:1024// 000000004CA4: E05C1400 8083242C
	v_add_f32_e64 v54, v54, 1.0                                // 000000004CAC: D1010036 0001E536
	v_add_f32_e64 v55, v55, 1.0                                // 000000004CB4: D1010037 0001E537
	v_add_f32_e64 v56, v56, 1.0                                // 000000004CBC: D1010038 0001E538
	v_add_f32_e64 v57, v57, 1.0                                // 000000004CC4: D1010039 0001E539
	v_rcp_f32_e32 v54, v54                                     // 000000004CCC: 7E6C4536
	v_rcp_f32_e32 v55, v55                                     // 000000004CD0: 7E6E4537
	v_rcp_f32_e32 v56, v56                                     // 000000004CD4: 7E704538
	v_rcp_f32_e32 v57, v57                                     // 000000004CD8: 7E724539
	v_pk_mul_f32 v[144:145], v[144:145], v[54:55]              // 000000004CDC: D3B14090 18026D90
	v_pk_mul_f32 v[146:147], v[146:147], v[56:57]              // 000000004CE4: D3B14092 18027192
	buffer_load_dwordx4 a[40:43], v44, s[12:15], 0 offen offset:2048// 000000004CEC: E05C1800 8083282C
	v_mul_f32_e64 v54, -v148, s6                               // 000000004CF4: D1050036 20000D94
	v_mul_f32_e64 v55, -v149, s6                               // 000000004CFC: D1050037 20000D95
	v_mul_f32_e64 v56, -v150, s6                               // 000000004D04: D1050038 20000D96
	v_mul_f32_e64 v57, -v151, s6                               // 000000004D0C: D1050039 20000D97
	v_exp_f32_e32 v54, v54                                     // 000000004D14: 7E6C4136
	v_exp_f32_e32 v55, v55                                     // 000000004D18: 7E6E4137
	v_exp_f32_e32 v56, v56                                     // 000000004D1C: 7E704138
	v_exp_f32_e32 v57, v57                                     // 000000004D20: 7E724139
	buffer_load_dwordx4 a[44:47], v44, s[12:15], 0 offen offset:3072// 000000004D24: E05C1C00 80832C2C
	v_add_f32_e64 v54, v54, 1.0                                // 000000004D2C: D1010036 0001E536
	v_add_f32_e64 v55, v55, 1.0                                // 000000004D34: D1010037 0001E537
	v_add_f32_e64 v56, v56, 1.0                                // 000000004D3C: D1010038 0001E538
	v_add_f32_e64 v57, v57, 1.0                                // 000000004D44: D1010039 0001E539
	v_rcp_f32_e32 v54, v54                                     // 000000004D4C: 7E6C4536
	v_rcp_f32_e32 v55, v55                                     // 000000004D50: 7E6E4537
	v_rcp_f32_e32 v56, v56                                     // 000000004D54: 7E704538
	v_rcp_f32_e32 v57, v57                                     // 000000004D58: 7E724539
	v_pk_mul_f32 v[148:149], v[148:149], v[54:55]              // 000000004D5C: D3B14094 18026D94
	v_pk_mul_f32 v[150:151], v[150:151], v[56:57]              // 000000004D64: D3B14096 18027196
	buffer_load_dwordx4 a[48:51], v45, s[12:15], 0 offen       // 000000004D6C: E05C1000 8083302D
	v_mul_f32_e64 v54, -v152, s6                               // 000000004D74: D1050036 20000D98
	v_mul_f32_e64 v55, -v153, s6                               // 000000004D7C: D1050037 20000D99
	v_mul_f32_e64 v56, -v154, s6                               // 000000004D84: D1050038 20000D9A
	v_mul_f32_e64 v57, -v155, s6                               // 000000004D8C: D1050039 20000D9B
	v_exp_f32_e32 v54, v54                                     // 000000004D94: 7E6C4136
	v_exp_f32_e32 v55, v55                                     // 000000004D98: 7E6E4137
	v_exp_f32_e32 v56, v56                                     // 000000004D9C: 7E704138
	v_exp_f32_e32 v57, v57                                     // 000000004DA0: 7E724139
	buffer_load_dwordx4 a[52:55], v45, s[12:15], 0 offen offset:1024// 000000004DA4: E05C1400 8083342D
	v_add_f32_e64 v54, v54, 1.0                                // 000000004DAC: D1010036 0001E536
	v_add_f32_e64 v55, v55, 1.0                                // 000000004DB4: D1010037 0001E537
	v_add_f32_e64 v56, v56, 1.0                                // 000000004DBC: D1010038 0001E538
	v_add_f32_e64 v57, v57, 1.0                                // 000000004DC4: D1010039 0001E539
	v_rcp_f32_e32 v54, v54                                     // 000000004DCC: 7E6C4536
	v_rcp_f32_e32 v55, v55                                     // 000000004DD0: 7E6E4537
	v_rcp_f32_e32 v56, v56                                     // 000000004DD4: 7E704538
	v_rcp_f32_e32 v57, v57                                     // 000000004DD8: 7E724539
	v_pk_mul_f32 v[152:153], v[152:153], v[54:55]              // 000000004DDC: D3B14098 18026D98
	v_pk_mul_f32 v[154:155], v[154:155], v[56:57]              // 000000004DE4: D3B1409A 1802719A
	buffer_load_dwordx4 a[56:59], v45, s[12:15], 0 offen offset:2048// 000000004DEC: E05C1800 8083382D
	v_mul_f32_e64 v54, -v156, s6                               // 000000004DF4: D1050036 20000D9C
	v_mul_f32_e64 v55, -v157, s6                               // 000000004DFC: D1050037 20000D9D
	v_mul_f32_e64 v56, -v158, s6                               // 000000004E04: D1050038 20000D9E
	v_mul_f32_e64 v57, -v159, s6                               // 000000004E0C: D1050039 20000D9F
	v_exp_f32_e32 v54, v54                                     // 000000004E14: 7E6C4136
	v_exp_f32_e32 v55, v55                                     // 000000004E18: 7E6E4137
	v_exp_f32_e32 v56, v56                                     // 000000004E1C: 7E704138
	v_exp_f32_e32 v57, v57                                     // 000000004E20: 7E724139
	buffer_load_dwordx4 a[60:63], v45, s[12:15], 0 offen offset:3072// 000000004E24: E05C1C00 80833C2D
	s_add_u32 s12, s78, s12                                    // 000000004E2C: 800C0C4E
	s_addc_u32 s13, 0, s13                                     // 000000004E30: 820D0D80
	v_add_f32_e64 v54, v54, 1.0                                // 000000004E34: D1010036 0001E536
	v_add_f32_e64 v55, v55, 1.0                                // 000000004E3C: D1010037 0001E537
	v_add_f32_e64 v56, v56, 1.0                                // 000000004E44: D1010038 0001E538
	v_add_f32_e64 v57, v57, 1.0                                // 000000004E4C: D1010039 0001E539
	v_rcp_f32_e32 v54, v54                                     // 000000004E54: 7E6C4536
	v_rcp_f32_e32 v55, v55                                     // 000000004E58: 7E6E4537
	v_rcp_f32_e32 v56, v56                                     // 000000004E5C: 7E704538
	v_rcp_f32_e32 v57, v57                                     // 000000004E60: 7E724539
	v_pk_mul_f32 v[156:157], v[156:157], v[54:55]              // 000000004E64: D3B1409C 18026D9C
	v_pk_mul_f32 v[158:159], v[158:159], v[56:57]              // 000000004E6C: D3B1409E 1802719E
	s_waitcnt vmcnt(24)                                        // 000000004E74: BF8C4F78
	buffer_load_dwordx4 a[64:67], v42, s[12:15], 0 offen       // 000000004E78: E05C1000 8083402A
	v_mul_f32_e64 v54, -v160, s6                               // 000000004E80: D1050036 20000DA0
	v_mul_f32_e64 v55, -v161, s6                               // 000000004E88: D1050037 20000DA1
	v_mul_f32_e64 v56, -v162, s6                               // 000000004E90: D1050038 20000DA2
	v_mul_f32_e64 v57, -v163, s6                               // 000000004E98: D1050039 20000DA3
	v_exp_f32_e32 v54, v54                                     // 000000004EA0: 7E6C4136
	v_exp_f32_e32 v55, v55                                     // 000000004EA4: 7E6E4137
	v_exp_f32_e32 v56, v56                                     // 000000004EA8: 7E704138
	v_exp_f32_e32 v57, v57                                     // 000000004EAC: 7E724139
	buffer_load_dwordx4 a[68:71], v42, s[12:15], 0 offen offset:1024// 000000004EB0: E05C1400 8083442A
	v_add_f32_e64 v54, v54, 1.0                                // 000000004EB8: D1010036 0001E536
	v_add_f32_e64 v55, v55, 1.0                                // 000000004EC0: D1010037 0001E537
	v_add_f32_e64 v56, v56, 1.0                                // 000000004EC8: D1010038 0001E538
	v_add_f32_e64 v57, v57, 1.0                                // 000000004ED0: D1010039 0001E539
	v_rcp_f32_e32 v54, v54                                     // 000000004ED8: 7E6C4536
	v_rcp_f32_e32 v55, v55                                     // 000000004EDC: 7E6E4537
	v_rcp_f32_e32 v56, v56                                     // 000000004EE0: 7E704538
	v_rcp_f32_e32 v57, v57                                     // 000000004EE4: 7E724539
	v_pk_mul_f32 v[160:161], v[160:161], v[54:55]              // 000000004EE8: D3B140A0 18026DA0
	v_pk_mul_f32 v[162:163], v[162:163], v[56:57]              // 000000004EF0: D3B140A2 180271A2
	buffer_load_dwordx4 a[72:75], v42, s[12:15], 0 offen offset:2048// 000000004EF8: E05C1800 8083482A
	v_mul_f32_e64 v54, -v164, s6                               // 000000004F00: D1050036 20000DA4
	v_mul_f32_e64 v55, -v165, s6                               // 000000004F08: D1050037 20000DA5
	v_mul_f32_e64 v56, -v166, s6                               // 000000004F10: D1050038 20000DA6
	v_mul_f32_e64 v57, -v167, s6                               // 000000004F18: D1050039 20000DA7
	v_exp_f32_e32 v54, v54                                     // 000000004F20: 7E6C4136
	v_exp_f32_e32 v55, v55                                     // 000000004F24: 7E6E4137
	v_exp_f32_e32 v56, v56                                     // 000000004F28: 7E704138
	v_exp_f32_e32 v57, v57                                     // 000000004F2C: 7E724139
	buffer_load_dwordx4 a[76:79], v42, s[12:15], 0 offen offset:3072// 000000004F30: E05C1C00 80834C2A
	v_add_f32_e64 v54, v54, 1.0                                // 000000004F38: D1010036 0001E536
	v_add_f32_e64 v55, v55, 1.0                                // 000000004F40: D1010037 0001E537
	v_add_f32_e64 v56, v56, 1.0                                // 000000004F48: D1010038 0001E538
	v_add_f32_e64 v57, v57, 1.0                                // 000000004F50: D1010039 0001E539
	v_rcp_f32_e32 v54, v54                                     // 000000004F58: 7E6C4536
	v_rcp_f32_e32 v55, v55                                     // 000000004F5C: 7E6E4537
	v_rcp_f32_e32 v56, v56                                     // 000000004F60: 7E704538
	v_rcp_f32_e32 v57, v57                                     // 000000004F64: 7E724539
	v_pk_mul_f32 v[164:165], v[164:165], v[54:55]              // 000000004F68: D3B140A4 18026DA4
	v_pk_mul_f32 v[166:167], v[166:167], v[56:57]              // 000000004F70: D3B140A6 180271A6
	buffer_load_dwordx4 a[80:83], v43, s[12:15], 0 offen       // 000000004F78: E05C1000 8083502B
	v_mul_f32_e64 v54, -v168, s6                               // 000000004F80: D1050036 20000DA8
	v_mul_f32_e64 v55, -v169, s6                               // 000000004F88: D1050037 20000DA9
	v_mul_f32_e64 v56, -v170, s6                               // 000000004F90: D1050038 20000DAA
	v_mul_f32_e64 v57, -v171, s6                               // 000000004F98: D1050039 20000DAB
	v_exp_f32_e32 v54, v54                                     // 000000004FA0: 7E6C4136
	v_exp_f32_e32 v55, v55                                     // 000000004FA4: 7E6E4137
	v_exp_f32_e32 v56, v56                                     // 000000004FA8: 7E704138
	v_exp_f32_e32 v57, v57                                     // 000000004FAC: 7E724139
	buffer_load_dwordx4 a[84:87], v43, s[12:15], 0 offen offset:1024// 000000004FB0: E05C1400 8083542B
	v_add_f32_e64 v54, v54, 1.0                                // 000000004FB8: D1010036 0001E536
	v_add_f32_e64 v55, v55, 1.0                                // 000000004FC0: D1010037 0001E537
	v_add_f32_e64 v56, v56, 1.0                                // 000000004FC8: D1010038 0001E538
	v_add_f32_e64 v57, v57, 1.0                                // 000000004FD0: D1010039 0001E539
	v_rcp_f32_e32 v54, v54                                     // 000000004FD8: 7E6C4536
	v_rcp_f32_e32 v55, v55                                     // 000000004FDC: 7E6E4537
	v_rcp_f32_e32 v56, v56                                     // 000000004FE0: 7E704538
	v_rcp_f32_e32 v57, v57                                     // 000000004FE4: 7E724539
	v_pk_mul_f32 v[168:169], v[168:169], v[54:55]              // 000000004FE8: D3B140A8 18026DA8
	v_pk_mul_f32 v[170:171], v[170:171], v[56:57]              // 000000004FF0: D3B140AA 180271AA
	buffer_load_dwordx4 a[88:91], v43, s[12:15], 0 offen offset:2048// 000000004FF8: E05C1800 8083582B
	v_mul_f32_e64 v54, -v172, s6                               // 000000005000: D1050036 20000DAC
	v_mul_f32_e64 v55, -v173, s6                               // 000000005008: D1050037 20000DAD
	v_mul_f32_e64 v56, -v174, s6                               // 000000005010: D1050038 20000DAE
	v_mul_f32_e64 v57, -v175, s6                               // 000000005018: D1050039 20000DAF
	v_exp_f32_e32 v54, v54                                     // 000000005020: 7E6C4136
	v_exp_f32_e32 v55, v55                                     // 000000005024: 7E6E4137
	v_exp_f32_e32 v56, v56                                     // 000000005028: 7E704138
	v_exp_f32_e32 v57, v57                                     // 00000000502C: 7E724139
	buffer_load_dwordx4 a[92:95], v43, s[12:15], 0 offen offset:3072// 000000005030: E05C1C00 80835C2B
	v_add_f32_e64 v54, v54, 1.0                                // 000000005038: D1010036 0001E536
	v_add_f32_e64 v55, v55, 1.0                                // 000000005040: D1010037 0001E537
	v_add_f32_e64 v56, v56, 1.0                                // 000000005048: D1010038 0001E538
	v_add_f32_e64 v57, v57, 1.0                                // 000000005050: D1010039 0001E539
	v_rcp_f32_e32 v54, v54                                     // 000000005058: 7E6C4536
	v_rcp_f32_e32 v55, v55                                     // 00000000505C: 7E6E4537
	v_rcp_f32_e32 v56, v56                                     // 000000005060: 7E704538
	v_rcp_f32_e32 v57, v57                                     // 000000005064: 7E724539
	v_pk_mul_f32 v[172:173], v[172:173], v[54:55]              // 000000005068: D3B140AC 18026DAC
	v_pk_mul_f32 v[174:175], v[174:175], v[56:57]              // 000000005070: D3B140AE 180271AE
	s_waitcnt vmcnt(24)                                        // 000000005078: BF8C4F78
	buffer_load_dwordx4 a[96:99], v44, s[12:15], 0 offen       // 00000000507C: E05C1000 8083602C
	v_mul_f32_e64 v54, -v176, s6                               // 000000005084: D1050036 20000DB0
	v_mul_f32_e64 v55, -v177, s6                               // 00000000508C: D1050037 20000DB1
	v_mul_f32_e64 v56, -v178, s6                               // 000000005094: D1050038 20000DB2
	v_mul_f32_e64 v57, -v179, s6                               // 00000000509C: D1050039 20000DB3
	v_exp_f32_e32 v54, v54                                     // 0000000050A4: 7E6C4136
	v_exp_f32_e32 v55, v55                                     // 0000000050A8: 7E6E4137
	v_exp_f32_e32 v56, v56                                     // 0000000050AC: 7E704138
	v_exp_f32_e32 v57, v57                                     // 0000000050B0: 7E724139
	buffer_load_dwordx4 a[100:103], v44, s[12:15], 0 offen offset:1024// 0000000050B4: E05C1400 8083642C
	v_add_f32_e64 v54, v54, 1.0                                // 0000000050BC: D1010036 0001E536
	v_add_f32_e64 v55, v55, 1.0                                // 0000000050C4: D1010037 0001E537
	v_add_f32_e64 v56, v56, 1.0                                // 0000000050CC: D1010038 0001E538
	v_add_f32_e64 v57, v57, 1.0                                // 0000000050D4: D1010039 0001E539
	v_rcp_f32_e32 v54, v54                                     // 0000000050DC: 7E6C4536
	v_rcp_f32_e32 v55, v55                                     // 0000000050E0: 7E6E4537
	v_rcp_f32_e32 v56, v56                                     // 0000000050E4: 7E704538
	v_rcp_f32_e32 v57, v57                                     // 0000000050E8: 7E724539
	v_pk_mul_f32 v[176:177], v[176:177], v[54:55]              // 0000000050EC: D3B140B0 18026DB0
	v_pk_mul_f32 v[178:179], v[178:179], v[56:57]              // 0000000050F4: D3B140B2 180271B2
	buffer_load_dwordx4 a[104:107], v44, s[12:15], 0 offen offset:2048// 0000000050FC: E05C1800 8083682C
	v_mul_f32_e64 v54, -v180, s6                               // 000000005104: D1050036 20000DB4
	v_mul_f32_e64 v55, -v181, s6                               // 00000000510C: D1050037 20000DB5
	v_mul_f32_e64 v56, -v182, s6                               // 000000005114: D1050038 20000DB6
	v_mul_f32_e64 v57, -v183, s6                               // 00000000511C: D1050039 20000DB7
	v_exp_f32_e32 v54, v54                                     // 000000005124: 7E6C4136
	v_exp_f32_e32 v55, v55                                     // 000000005128: 7E6E4137
	v_exp_f32_e32 v56, v56                                     // 00000000512C: 7E704138
	v_exp_f32_e32 v57, v57                                     // 000000005130: 7E724139
	buffer_load_dwordx4 a[108:111], v44, s[12:15], 0 offen offset:3072// 000000005134: E05C1C00 80836C2C
	v_add_f32_e64 v54, v54, 1.0                                // 00000000513C: D1010036 0001E536
	v_add_f32_e64 v55, v55, 1.0                                // 000000005144: D1010037 0001E537
	v_add_f32_e64 v56, v56, 1.0                                // 00000000514C: D1010038 0001E538
	v_add_f32_e64 v57, v57, 1.0                                // 000000005154: D1010039 0001E539
	v_rcp_f32_e32 v54, v54                                     // 00000000515C: 7E6C4536
	v_rcp_f32_e32 v55, v55                                     // 000000005160: 7E6E4537
	v_rcp_f32_e32 v56, v56                                     // 000000005164: 7E704538
	v_rcp_f32_e32 v57, v57                                     // 000000005168: 7E724539
	v_pk_mul_f32 v[180:181], v[180:181], v[54:55]              // 00000000516C: D3B140B4 18026DB4
	v_pk_mul_f32 v[182:183], v[182:183], v[56:57]              // 000000005174: D3B140B6 180271B6
	buffer_load_dwordx4 a[112:115], v45, s[12:15], 0 offen     // 00000000517C: E05C1000 8083702D
	v_mul_f32_e64 v54, -v184, s6                               // 000000005184: D1050036 20000DB8
	v_mul_f32_e64 v55, -v185, s6                               // 00000000518C: D1050037 20000DB9
	v_mul_f32_e64 v56, -v186, s6                               // 000000005194: D1050038 20000DBA
	v_mul_f32_e64 v57, -v187, s6                               // 00000000519C: D1050039 20000DBB
	v_exp_f32_e32 v54, v54                                     // 0000000051A4: 7E6C4136
	v_exp_f32_e32 v55, v55                                     // 0000000051A8: 7E6E4137
	v_exp_f32_e32 v56, v56                                     // 0000000051AC: 7E704138
	v_exp_f32_e32 v57, v57                                     // 0000000051B0: 7E724139
	buffer_load_dwordx4 a[116:119], v45, s[12:15], 0 offen offset:1024// 0000000051B4: E05C1400 8083742D
	v_add_f32_e64 v54, v54, 1.0                                // 0000000051BC: D1010036 0001E536
	v_add_f32_e64 v55, v55, 1.0                                // 0000000051C4: D1010037 0001E537
	v_add_f32_e64 v56, v56, 1.0                                // 0000000051CC: D1010038 0001E538
	v_add_f32_e64 v57, v57, 1.0                                // 0000000051D4: D1010039 0001E539
	v_rcp_f32_e32 v54, v54                                     // 0000000051DC: 7E6C4536
	v_rcp_f32_e32 v55, v55                                     // 0000000051E0: 7E6E4537
	v_rcp_f32_e32 v56, v56                                     // 0000000051E4: 7E704538
	v_rcp_f32_e32 v57, v57                                     // 0000000051E8: 7E724539
	v_pk_mul_f32 v[184:185], v[184:185], v[54:55]              // 0000000051EC: D3B140B8 18026DB8
	v_pk_mul_f32 v[186:187], v[186:187], v[56:57]              // 0000000051F4: D3B140BA 180271BA
	buffer_load_dwordx4 a[120:123], v45, s[12:15], 0 offen offset:2048// 0000000051FC: E05C1800 8083782D
	v_mul_f32_e64 v54, -v188, s6                               // 000000005204: D1050036 20000DBC
	v_mul_f32_e64 v55, -v189, s6                               // 00000000520C: D1050037 20000DBD
	v_mul_f32_e64 v56, -v190, s6                               // 000000005214: D1050038 20000DBE
	v_mul_f32_e64 v57, -v191, s6                               // 00000000521C: D1050039 20000DBF
	v_exp_f32_e32 v54, v54                                     // 000000005224: 7E6C4136
	v_exp_f32_e32 v55, v55                                     // 000000005228: 7E6E4137
	v_exp_f32_e32 v56, v56                                     // 00000000522C: 7E704138
	v_exp_f32_e32 v57, v57                                     // 000000005230: 7E724139
	buffer_load_dwordx4 a[124:127], v45, s[12:15], 0 offen offset:3072// 000000005234: E05C1C00 80837C2D
	v_add_f32_e64 v54, v54, 1.0                                // 00000000523C: D1010036 0001E536
	v_add_f32_e64 v55, v55, 1.0                                // 000000005244: D1010037 0001E537
	v_add_f32_e64 v56, v56, 1.0                                // 00000000524C: D1010038 0001E538
	v_add_f32_e64 v57, v57, 1.0                                // 000000005254: D1010039 0001E539
	v_rcp_f32_e32 v54, v54                                     // 00000000525C: 7E6C4536
	v_rcp_f32_e32 v55, v55                                     // 000000005260: 7E6E4537
	v_rcp_f32_e32 v56, v56                                     // 000000005264: 7E704538
	v_rcp_f32_e32 v57, v57                                     // 000000005268: 7E724539
	v_pk_mul_f32 v[188:189], v[188:189], v[54:55]              // 00000000526C: D3B140BC 18026DBC
	v_pk_mul_f32 v[190:191], v[190:191], v[56:57]              // 000000005274: D3B140BE 180271BE
	v_mul_f32_dpp v128, v18, v128 row_newbcast:0 row_mask:0xf bank_mask:0xf// 00000000527C: 0B0100FA FF015012
	v_mul_f32_dpp v129, v18, v129 row_newbcast:1 row_mask:0xf bank_mask:0xf// 000000005284: 0B0302FA FF015112
	v_mul_f32_dpp v130, v18, v130 row_newbcast:2 row_mask:0xf bank_mask:0xf// 00000000528C: 0B0504FA FF015212
	v_mul_f32_dpp v131, v18, v131 row_newbcast:3 row_mask:0xf bank_mask:0xf// 000000005294: 0B0706FA FF015312
	v_mul_f32_dpp v132, v18, v132 row_newbcast:0 row_mask:0xf bank_mask:0xf// 00000000529C: 0B0908FA FF015012
	v_mul_f32_dpp v133, v18, v133 row_newbcast:1 row_mask:0xf bank_mask:0xf// 0000000052A4: 0B0B0AFA FF015112
	v_mul_f32_dpp v134, v18, v134 row_newbcast:2 row_mask:0xf bank_mask:0xf// 0000000052AC: 0B0D0CFA FF015212
	v_mul_f32_dpp v135, v18, v135 row_newbcast:3 row_mask:0xf bank_mask:0xf// 0000000052B4: 0B0F0EFA FF015312
	v_mul_f32_dpp v136, v18, v136 row_newbcast:4 row_mask:0xf bank_mask:0xf// 0000000052BC: 0B1110FA FF015412
	v_mul_f32_dpp v137, v18, v137 row_newbcast:5 row_mask:0xf bank_mask:0xf// 0000000052C4: 0B1312FA FF015512
	v_mul_f32_dpp v138, v18, v138 row_newbcast:6 row_mask:0xf bank_mask:0xf// 0000000052CC: 0B1514FA FF015612
	v_mul_f32_dpp v139, v18, v139 row_newbcast:7 row_mask:0xf bank_mask:0xf// 0000000052D4: 0B1716FA FF015712
	v_mul_f32_dpp v140, v18, v140 row_newbcast:4 row_mask:0xf bank_mask:0xf// 0000000052DC: 0B1918FA FF015412
	v_mul_f32_dpp v141, v18, v141 row_newbcast:5 row_mask:0xf bank_mask:0xf// 0000000052E4: 0B1B1AFA FF015512
	v_mul_f32_dpp v142, v18, v142 row_newbcast:6 row_mask:0xf bank_mask:0xf// 0000000052EC: 0B1D1CFA FF015612
	v_mul_f32_dpp v143, v18, v143 row_newbcast:7 row_mask:0xf bank_mask:0xf// 0000000052F4: 0B1F1EFA FF015712
	v_mul_f32_dpp v144, v18, v144 row_newbcast:8 row_mask:0xf bank_mask:0xf// 0000000052FC: 0B2120FA FF015812
	v_mul_f32_dpp v145, v18, v145 row_newbcast:9 row_mask:0xf bank_mask:0xf// 000000005304: 0B2322FA FF015912
	v_mul_f32_dpp v146, v18, v146 row_newbcast:10 row_mask:0xf bank_mask:0xf// 00000000530C: 0B2524FA FF015A12
	v_mul_f32_dpp v147, v18, v147 row_newbcast:11 row_mask:0xf bank_mask:0xf// 000000005314: 0B2726FA FF015B12
	v_mul_f32_dpp v148, v18, v148 row_newbcast:8 row_mask:0xf bank_mask:0xf// 00000000531C: 0B2928FA FF015812
	v_mul_f32_dpp v149, v18, v149 row_newbcast:9 row_mask:0xf bank_mask:0xf// 000000005324: 0B2B2AFA FF015912
	v_mul_f32_dpp v150, v18, v150 row_newbcast:10 row_mask:0xf bank_mask:0xf// 00000000532C: 0B2D2CFA FF015A12
	v_mul_f32_dpp v151, v18, v151 row_newbcast:11 row_mask:0xf bank_mask:0xf// 000000005334: 0B2F2EFA FF015B12
	v_mul_f32_dpp v152, v18, v152 row_newbcast:12 row_mask:0xf bank_mask:0xf// 00000000533C: 0B3130FA FF015C12
	v_mul_f32_dpp v153, v18, v153 row_newbcast:13 row_mask:0xf bank_mask:0xf// 000000005344: 0B3332FA FF015D12
	v_mul_f32_dpp v154, v18, v154 row_newbcast:14 row_mask:0xf bank_mask:0xf// 00000000534C: 0B3534FA FF015E12
	v_mul_f32_dpp v155, v18, v155 row_newbcast:15 row_mask:0xf bank_mask:0xf// 000000005354: 0B3736FA FF015F12
	v_mul_f32_dpp v156, v18, v156 row_newbcast:12 row_mask:0xf bank_mask:0xf// 00000000535C: 0B3938FA FF015C12
	v_mul_f32_dpp v157, v18, v157 row_newbcast:13 row_mask:0xf bank_mask:0xf// 000000005364: 0B3B3AFA FF015D12
	v_mul_f32_dpp v158, v18, v158 row_newbcast:14 row_mask:0xf bank_mask:0xf// 00000000536C: 0B3D3CFA FF015E12
	v_mul_f32_dpp v159, v18, v159 row_newbcast:15 row_mask:0xf bank_mask:0xf// 000000005374: 0B3F3EFA FF015F12
	v_mul_f32_dpp v160, v19, v160 row_newbcast:0 row_mask:0xf bank_mask:0xf// 00000000537C: 0B4140FA FF015013
	v_mul_f32_dpp v161, v19, v161 row_newbcast:1 row_mask:0xf bank_mask:0xf// 000000005384: 0B4342FA FF015113
	v_mul_f32_dpp v162, v19, v162 row_newbcast:2 row_mask:0xf bank_mask:0xf// 00000000538C: 0B4544FA FF015213
	v_mul_f32_dpp v163, v19, v163 row_newbcast:3 row_mask:0xf bank_mask:0xf// 000000005394: 0B4746FA FF015313
	v_mul_f32_dpp v164, v19, v164 row_newbcast:0 row_mask:0xf bank_mask:0xf// 00000000539C: 0B4948FA FF015013
	v_mul_f32_dpp v165, v19, v165 row_newbcast:1 row_mask:0xf bank_mask:0xf// 0000000053A4: 0B4B4AFA FF015113
	v_mul_f32_dpp v166, v19, v166 row_newbcast:2 row_mask:0xf bank_mask:0xf// 0000000053AC: 0B4D4CFA FF015213
	v_mul_f32_dpp v167, v19, v167 row_newbcast:3 row_mask:0xf bank_mask:0xf// 0000000053B4: 0B4F4EFA FF015313
	v_mul_f32_dpp v168, v19, v168 row_newbcast:4 row_mask:0xf bank_mask:0xf// 0000000053BC: 0B5150FA FF015413
	v_mul_f32_dpp v169, v19, v169 row_newbcast:5 row_mask:0xf bank_mask:0xf// 0000000053C4: 0B5352FA FF015513
	v_mul_f32_dpp v170, v19, v170 row_newbcast:6 row_mask:0xf bank_mask:0xf// 0000000053CC: 0B5554FA FF015613
	v_mul_f32_dpp v171, v19, v171 row_newbcast:7 row_mask:0xf bank_mask:0xf// 0000000053D4: 0B5756FA FF015713
	v_mul_f32_dpp v172, v19, v172 row_newbcast:4 row_mask:0xf bank_mask:0xf// 0000000053DC: 0B5958FA FF015413
	v_mul_f32_dpp v173, v19, v173 row_newbcast:5 row_mask:0xf bank_mask:0xf// 0000000053E4: 0B5B5AFA FF015513
	v_mul_f32_dpp v174, v19, v174 row_newbcast:6 row_mask:0xf bank_mask:0xf// 0000000053EC: 0B5D5CFA FF015613
	v_mul_f32_dpp v175, v19, v175 row_newbcast:7 row_mask:0xf bank_mask:0xf// 0000000053F4: 0B5F5EFA FF015713
	v_mul_f32_dpp v176, v19, v176 row_newbcast:8 row_mask:0xf bank_mask:0xf// 0000000053FC: 0B6160FA FF015813
	v_mul_f32_dpp v177, v19, v177 row_newbcast:9 row_mask:0xf bank_mask:0xf// 000000005404: 0B6362FA FF015913
	v_mul_f32_dpp v178, v19, v178 row_newbcast:10 row_mask:0xf bank_mask:0xf// 00000000540C: 0B6564FA FF015A13
	v_mul_f32_dpp v179, v19, v179 row_newbcast:11 row_mask:0xf bank_mask:0xf// 000000005414: 0B6766FA FF015B13
	v_mul_f32_dpp v180, v19, v180 row_newbcast:8 row_mask:0xf bank_mask:0xf// 00000000541C: 0B6968FA FF015813
	v_mul_f32_dpp v181, v19, v181 row_newbcast:9 row_mask:0xf bank_mask:0xf// 000000005424: 0B6B6AFA FF015913
	v_mul_f32_dpp v182, v19, v182 row_newbcast:10 row_mask:0xf bank_mask:0xf// 00000000542C: 0B6D6CFA FF015A13
	v_mul_f32_dpp v183, v19, v183 row_newbcast:11 row_mask:0xf bank_mask:0xf// 000000005434: 0B6F6EFA FF015B13
	v_mul_f32_dpp v184, v19, v184 row_newbcast:12 row_mask:0xf bank_mask:0xf// 00000000543C: 0B7170FA FF015C13
	v_mul_f32_dpp v185, v19, v185 row_newbcast:13 row_mask:0xf bank_mask:0xf// 000000005444: 0B7372FA FF015D13
	v_mul_f32_dpp v186, v19, v186 row_newbcast:14 row_mask:0xf bank_mask:0xf// 00000000544C: 0B7574FA FF015E13
	v_mul_f32_dpp v187, v19, v187 row_newbcast:15 row_mask:0xf bank_mask:0xf// 000000005454: 0B7776FA FF015F13
	v_mul_f32_dpp v188, v19, v188 row_newbcast:12 row_mask:0xf bank_mask:0xf// 00000000545C: 0B7978FA FF015C13
	v_mul_f32_dpp v189, v19, v189 row_newbcast:13 row_mask:0xf bank_mask:0xf// 000000005464: 0B7B7AFA FF015D13
	v_mul_f32_dpp v190, v19, v190 row_newbcast:14 row_mask:0xf bank_mask:0xf// 00000000546C: 0B7D7CFA FF015E13
	v_mul_f32_dpp v191, v19, v191 row_newbcast:15 row_mask:0xf bank_mask:0xf// 000000005474: 0B7F7EFA FF015F13
	buffer_load_dword v12, v5, s[16:19], 0 offen               // 00000000547C: E0501000 80040C05
	v_mov_b32_e32 v22, 0x358637bd                              // 000000005484: 7E2C02FF 358637BD
	v_mov_b32_e32 v23, 0x358637bd                              // 00000000548C: 7E2E02FF 358637BD
	v_max3_f32 v22, |v128|, |v129|, v22                        // 000000005494: D1D30316 045B0380
	v_max3_f32 v22, |v130|, |v131|, v22                        // 00000000549C: D1D30316 045B0782
	v_max3_f32 v23, |v132|, |v133|, v23                        // 0000000054A4: D1D30317 045F0B84
	v_max3_f32 v23, |v134|, |v135|, v23                        // 0000000054AC: D1D30317 045F0F86
	v_max3_f32 v22, |v136|, |v137|, v22                        // 0000000054B4: D1D30316 045B1388
	v_max3_f32 v22, |v138|, |v139|, v22                        // 0000000054BC: D1D30316 045B178A
	v_max3_f32 v23, |v140|, |v141|, v23                        // 0000000054C4: D1D30317 045F1B8C
	v_max3_f32 v23, |v142|, |v143|, v23                        // 0000000054CC: D1D30317 045F1F8E
	v_max3_f32 v22, |v144|, |v145|, v22                        // 0000000054D4: D1D30316 045B2390
	v_max3_f32 v22, |v146|, |v147|, v22                        // 0000000054DC: D1D30316 045B2792
	v_max3_f32 v23, |v148|, |v149|, v23                        // 0000000054E4: D1D30317 045F2B94
	v_max3_f32 v23, |v150|, |v151|, v23                        // 0000000054EC: D1D30317 045F2F96
	v_max3_f32 v22, |v152|, |v153|, v22                        // 0000000054F4: D1D30316 045B3398
	v_max3_f32 v22, |v154|, |v155|, v22                        // 0000000054FC: D1D30316 045B379A
	v_max3_f32 v23, |v156|, |v157|, v23                        // 000000005504: D1D30317 045F3B9C
	v_max3_f32 v23, |v158|, |v159|, v23                        // 00000000550C: D1D30317 045F3F9E
	v_max3_f32 v22, |v160|, |v161|, v22                        // 000000005514: D1D30316 045B43A0
	v_max3_f32 v22, |v162|, |v163|, v22                        // 00000000551C: D1D30316 045B47A2
	v_max3_f32 v23, |v164|, |v165|, v23                        // 000000005524: D1D30317 045F4BA4
	v_max3_f32 v23, |v166|, |v167|, v23                        // 00000000552C: D1D30317 045F4FA6
	v_max3_f32 v22, |v168|, |v169|, v22                        // 000000005534: D1D30316 045B53A8
	v_max3_f32 v22, |v170|, |v171|, v22                        // 00000000553C: D1D30316 045B57AA
	v_max3_f32 v23, |v172|, |v173|, v23                        // 000000005544: D1D30317 045F5BAC
	v_max3_f32 v23, |v174|, |v175|, v23                        // 00000000554C: D1D30317 045F5FAE
	v_max3_f32 v22, |v176|, |v177|, v22                        // 000000005554: D1D30316 045B63B0
	v_max3_f32 v22, |v178|, |v179|, v22                        // 00000000555C: D1D30316 045B67B2
	v_max3_f32 v23, |v180|, |v181|, v23                        // 000000005564: D1D30317 045F6BB4
	v_max3_f32 v23, |v182|, |v183|, v23                        // 00000000556C: D1D30317 045F6FB6
	v_max3_f32 v22, |v184|, |v185|, v22                        // 000000005574: D1D30316 045B73B8
	v_max3_f32 v22, |v186|, |v187|, v22                        // 00000000557C: D1D30316 045B77BA
	v_max3_f32 v23, |v188|, |v189|, v23                        // 000000005584: D1D30317 045F7BBC
	v_max3_f32 v23, |v190|, |v191|, v23                        // 00000000558C: D1D30317 045F7FBE
	v_lshlrev_b32_e32 v54, 3, v0                               // 000000005594: 246C0083
	s_mul_i32 s60, 0x200, s5                                   // 000000005598: 923C05FF 00000200
	v_add_u32_e32 v54, s60, v54                                // 0000000055A0: 686C6C3C
	ds_write_b64 v54, v[22:23] offset:16640                    // 0000000055A4: D89A4100 00001636
	s_waitcnt lgkmcnt(0)                                       // 0000000055AC: BF8CC07F
	s_barrier                                                  // 0000000055B0: BF8A0000
	v_and_b32_e32 v54, 15, v0                                  // 0000000055B4: 266C008F
	v_lshlrev_b32_e32 v54, 3, v54                              // 0000000055B8: 246C6C83
	ds_read_b64 v[96:97], v54 offset:16640                     // 0000000055BC: D8EC4100 60000036
	ds_read_b64 v[98:99], v54 offset:16768                     // 0000000055C4: D8EC4180 62000036
	ds_read_b64 v[100:101], v54 offset:16896                   // 0000000055CC: D8EC4200 64000036
	ds_read_b64 v[102:103], v54 offset:17024                   // 0000000055D4: D8EC4280 66000036
	ds_read_b64 v[104:105], v54 offset:17152                   // 0000000055DC: D8EC4300 68000036
	ds_read_b64 v[106:107], v54 offset:17280                   // 0000000055E4: D8EC4380 6A000036
	ds_read_b64 v[108:109], v54 offset:17408                   // 0000000055EC: D8EC4400 6C000036
	ds_read_b64 v[110:111], v54 offset:17536                   // 0000000055F4: D8EC4480 6E000036
	ds_read_b64 v[112:113], v54 offset:17664                   // 0000000055FC: D8EC4500 70000036
	ds_read_b64 v[114:115], v54 offset:17792                   // 000000005604: D8EC4580 72000036
	ds_read_b64 v[116:117], v54 offset:17920                   // 00000000560C: D8EC4600 74000036
	ds_read_b64 v[118:119], v54 offset:18048                   // 000000005614: D8EC4680 76000036
	ds_read_b64 v[120:121], v54 offset:18176                   // 00000000561C: D8EC4700 78000036
	ds_read_b64 v[122:123], v54 offset:18304                   // 000000005624: D8EC4780 7A000036
	ds_read_b64 v[124:125], v54 offset:18432                   // 00000000562C: D8EC4800 7C000036
	ds_read_b64 v[126:127], v54 offset:18560                   // 000000005634: D8EC4880 7E000036
	s_waitcnt lgkmcnt(0)                                       // 00000000563C: BF8CC07F
	v_max3_f32 v22, |v96|, |v98|, v22                          // 000000005640: D1D30316 045AC560
	v_max3_f32 v23, |v97|, |v99|, v23                          // 000000005648: D1D30317 045EC761
	v_max3_f32 v22, |v100|, |v102|, v22                        // 000000005650: D1D30316 045ACD64
	v_max3_f32 v23, |v101|, |v103|, v23                        // 000000005658: D1D30317 045ECF65
	v_max3_f32 v22, |v104|, |v106|, v22                        // 000000005660: D1D30316 045AD568
	v_max3_f32 v23, |v105|, |v107|, v23                        // 000000005668: D1D30317 045ED769
	v_max3_f32 v22, |v108|, |v110|, v22                        // 000000005670: D1D30316 045ADD6C
	v_max3_f32 v23, |v109|, |v111|, v23                        // 000000005678: D1D30317 045EDF6D
	v_max3_f32 v22, |v112|, |v114|, v22                        // 000000005680: D1D30316 045AE570
	v_max3_f32 v23, |v113|, |v115|, v23                        // 000000005688: D1D30317 045EE771
	v_max3_f32 v22, |v116|, |v118|, v22                        // 000000005690: D1D30316 045AED74
	v_max3_f32 v23, |v117|, |v119|, v23                        // 000000005698: D1D30317 045EEF75
	v_max3_f32 v22, |v120|, |v122|, v22                        // 0000000056A0: D1D30316 045AF578
	v_max3_f32 v23, |v121|, |v123|, v23                        // 0000000056A8: D1D30317 045EF779
	v_max3_f32 v22, |v124|, |v126|, v22                        // 0000000056B0: D1D30316 045AFD7C
	v_max3_f32 v23, |v125|, |v127|, v23                        // 0000000056B8: D1D30317 045EFF7D
	v_rcp_f32_e32 v22, v22                                     // 0000000056C0: 7E2C4516
	v_rcp_f32_e32 v23, v23                                     // 0000000056C4: 7E2E4517
	v_mul_f32_e32 v22, 0x42fe0000, v22                         // 0000000056C8: 0A2C2CFF 42FE0000
	v_mul_f32_e32 v23, 0x42fe0000, v23                         // 0000000056D0: 0A2E2EFF 42FE0000
	v_mul_f32_e32 v128, v22, v128                              // 0000000056D8: 0B010116
	v_mul_f32_e32 v129, v22, v129                              // 0000000056DC: 0B030316
	v_mul_f32_e32 v130, v22, v130                              // 0000000056E0: 0B050516
	v_mul_f32_e32 v131, v22, v131                              // 0000000056E4: 0B070716
	v_cvt_i32_f32_e32 v128, v128                               // 0000000056E8: 7F001180
	v_cvt_i32_f32_e32 v129, v129                               // 0000000056EC: 7F021181
	v_cvt_i32_f32_e32 v130, v130                               // 0000000056F0: 7F041182
	v_cvt_i32_f32_e32 v131, v131                               // 0000000056F4: 7F061183
	v_perm_b32 v128, v129, v128, s53                           // 0000000056F8: D1ED0080 00D70181
	v_perm_b32 v128, v130, v128, s54                           // 000000005700: D1ED0080 00DB0182
	v_perm_b32 v128, v131, v128, s55                           // 000000005708: D1ED0080 00DF0183
	v_mul_f32_e32 v132, v23, v132                              // 000000005710: 0B090917
	v_mul_f32_e32 v133, v23, v133                              // 000000005714: 0B0B0B17
	v_mul_f32_e32 v134, v23, v134                              // 000000005718: 0B0D0D17
	v_mul_f32_e32 v135, v23, v135                              // 00000000571C: 0B0F0F17
	v_cvt_i32_f32_e32 v132, v132                               // 000000005720: 7F081184
	v_cvt_i32_f32_e32 v133, v133                               // 000000005724: 7F0A1185
	v_cvt_i32_f32_e32 v134, v134                               // 000000005728: 7F0C1186
	v_cvt_i32_f32_e32 v135, v135                               // 00000000572C: 7F0E1187
	v_perm_b32 v129, v133, v132, s53                           // 000000005730: D1ED0081 00D70985
	v_perm_b32 v129, v134, v129, s54                           // 000000005738: D1ED0081 00DB0386
	v_perm_b32 v129, v135, v129, s55                           // 000000005740: D1ED0081 00DF0387
	v_mul_f32_e32 v136, v22, v136                              // 000000005748: 0B111116
	v_mul_f32_e32 v137, v22, v137                              // 00000000574C: 0B131316
	v_mul_f32_e32 v138, v22, v138                              // 000000005750: 0B151516
	v_mul_f32_e32 v139, v22, v139                              // 000000005754: 0B171716
	v_cvt_i32_f32_e32 v136, v136                               // 000000005758: 7F101188
	v_cvt_i32_f32_e32 v137, v137                               // 00000000575C: 7F121189
	v_cvt_i32_f32_e32 v138, v138                               // 000000005760: 7F14118A
	v_cvt_i32_f32_e32 v139, v139                               // 000000005764: 7F16118B
	v_perm_b32 v130, v137, v136, s53                           // 000000005768: D1ED0082 00D71189
	v_perm_b32 v130, v138, v130, s54                           // 000000005770: D1ED0082 00DB058A
	v_perm_b32 v130, v139, v130, s55                           // 000000005778: D1ED0082 00DF058B
	v_mul_f32_e32 v140, v23, v140                              // 000000005780: 0B191917
	v_mul_f32_e32 v141, v23, v141                              // 000000005784: 0B1B1B17
	v_mul_f32_e32 v142, v23, v142                              // 000000005788: 0B1D1D17
	v_mul_f32_e32 v143, v23, v143                              // 00000000578C: 0B1F1F17
	v_cvt_i32_f32_e32 v140, v140                               // 000000005790: 7F18118C
	v_cvt_i32_f32_e32 v141, v141                               // 000000005794: 7F1A118D
	v_cvt_i32_f32_e32 v142, v142                               // 000000005798: 7F1C118E
	v_cvt_i32_f32_e32 v143, v143                               // 00000000579C: 7F1E118F
	v_perm_b32 v131, v141, v140, s53                           // 0000000057A0: D1ED0083 00D7198D
	v_perm_b32 v131, v142, v131, s54                           // 0000000057A8: D1ED0083 00DB078E
	v_perm_b32 v131, v143, v131, s55                           // 0000000057B0: D1ED0083 00DF078F
	v_mul_f32_e32 v144, v22, v144                              // 0000000057B8: 0B212116
	v_mul_f32_e32 v145, v22, v145                              // 0000000057BC: 0B232316
	v_mul_f32_e32 v146, v22, v146                              // 0000000057C0: 0B252516
	v_mul_f32_e32 v147, v22, v147                              // 0000000057C4: 0B272716
	v_cvt_i32_f32_e32 v144, v144                               // 0000000057C8: 7F201190
	v_cvt_i32_f32_e32 v145, v145                               // 0000000057CC: 7F221191
	v_cvt_i32_f32_e32 v146, v146                               // 0000000057D0: 7F241192
	v_cvt_i32_f32_e32 v147, v147                               // 0000000057D4: 7F261193
	v_perm_b32 v132, v145, v144, s53                           // 0000000057D8: D1ED0084 00D72191
	v_perm_b32 v132, v146, v132, s54                           // 0000000057E0: D1ED0084 00DB0992
	v_perm_b32 v132, v147, v132, s55                           // 0000000057E8: D1ED0084 00DF0993
	v_mul_f32_e32 v148, v23, v148                              // 0000000057F0: 0B292917
	v_mul_f32_e32 v149, v23, v149                              // 0000000057F4: 0B2B2B17
	v_mul_f32_e32 v150, v23, v150                              // 0000000057F8: 0B2D2D17
	v_mul_f32_e32 v151, v23, v151                              // 0000000057FC: 0B2F2F17
	v_cvt_i32_f32_e32 v148, v148                               // 000000005800: 7F281194
	v_cvt_i32_f32_e32 v149, v149                               // 000000005804: 7F2A1195
	v_cvt_i32_f32_e32 v150, v150                               // 000000005808: 7F2C1196
	v_cvt_i32_f32_e32 v151, v151                               // 00000000580C: 7F2E1197
	v_perm_b32 v133, v149, v148, s53                           // 000000005810: D1ED0085 00D72995
	v_perm_b32 v133, v150, v133, s54                           // 000000005818: D1ED0085 00DB0B96
	v_perm_b32 v133, v151, v133, s55                           // 000000005820: D1ED0085 00DF0B97
	v_mul_f32_e32 v152, v22, v152                              // 000000005828: 0B313116
	v_mul_f32_e32 v153, v22, v153                              // 00000000582C: 0B333316
	v_mul_f32_e32 v154, v22, v154                              // 000000005830: 0B353516
	v_mul_f32_e32 v155, v22, v155                              // 000000005834: 0B373716
	v_cvt_i32_f32_e32 v152, v152                               // 000000005838: 7F301198
	v_cvt_i32_f32_e32 v153, v153                               // 00000000583C: 7F321199
	v_cvt_i32_f32_e32 v154, v154                               // 000000005840: 7F34119A
	v_cvt_i32_f32_e32 v155, v155                               // 000000005844: 7F36119B
	v_perm_b32 v134, v153, v152, s53                           // 000000005848: D1ED0086 00D73199
	v_perm_b32 v134, v154, v134, s54                           // 000000005850: D1ED0086 00DB0D9A
	v_perm_b32 v134, v155, v134, s55                           // 000000005858: D1ED0086 00DF0D9B
	v_mul_f32_e32 v156, v23, v156                              // 000000005860: 0B393917
	v_mul_f32_e32 v157, v23, v157                              // 000000005864: 0B3B3B17
	v_mul_f32_e32 v158, v23, v158                              // 000000005868: 0B3D3D17
	v_mul_f32_e32 v159, v23, v159                              // 00000000586C: 0B3F3F17
	v_cvt_i32_f32_e32 v156, v156                               // 000000005870: 7F38119C
	v_cvt_i32_f32_e32 v157, v157                               // 000000005874: 7F3A119D
	v_cvt_i32_f32_e32 v158, v158                               // 000000005878: 7F3C119E
	v_cvt_i32_f32_e32 v159, v159                               // 00000000587C: 7F3E119F
	v_perm_b32 v135, v157, v156, s53                           // 000000005880: D1ED0087 00D7399D
	v_perm_b32 v135, v158, v135, s54                           // 000000005888: D1ED0087 00DB0F9E
	v_perm_b32 v135, v159, v135, s55                           // 000000005890: D1ED0087 00DF0F9F
	v_mul_f32_e32 v160, v22, v160                              // 000000005898: 0B414116
	v_mul_f32_e32 v161, v22, v161                              // 00000000589C: 0B434316
	v_mul_f32_e32 v162, v22, v162                              // 0000000058A0: 0B454516
	v_mul_f32_e32 v163, v22, v163                              // 0000000058A4: 0B474716
	v_cvt_i32_f32_e32 v160, v160                               // 0000000058A8: 7F4011A0
	v_cvt_i32_f32_e32 v161, v161                               // 0000000058AC: 7F4211A1
	v_cvt_i32_f32_e32 v162, v162                               // 0000000058B0: 7F4411A2
	v_cvt_i32_f32_e32 v163, v163                               // 0000000058B4: 7F4611A3
	v_perm_b32 v136, v161, v160, s53                           // 0000000058B8: D1ED0088 00D741A1
	v_perm_b32 v136, v162, v136, s54                           // 0000000058C0: D1ED0088 00DB11A2
	v_perm_b32 v136, v163, v136, s55                           // 0000000058C8: D1ED0088 00DF11A3
	v_mul_f32_e32 v164, v23, v164                              // 0000000058D0: 0B494917
	v_mul_f32_e32 v165, v23, v165                              // 0000000058D4: 0B4B4B17
	v_mul_f32_e32 v166, v23, v166                              // 0000000058D8: 0B4D4D17
	v_mul_f32_e32 v167, v23, v167                              // 0000000058DC: 0B4F4F17
	v_cvt_i32_f32_e32 v164, v164                               // 0000000058E0: 7F4811A4
	v_cvt_i32_f32_e32 v165, v165                               // 0000000058E4: 7F4A11A5
	v_cvt_i32_f32_e32 v166, v166                               // 0000000058E8: 7F4C11A6
	v_cvt_i32_f32_e32 v167, v167                               // 0000000058EC: 7F4E11A7
	v_perm_b32 v137, v165, v164, s53                           // 0000000058F0: D1ED0089 00D749A5
	v_perm_b32 v137, v166, v137, s54                           // 0000000058F8: D1ED0089 00DB13A6
	v_perm_b32 v137, v167, v137, s55                           // 000000005900: D1ED0089 00DF13A7
	v_mul_f32_e32 v168, v22, v168                              // 000000005908: 0B515116
	v_mul_f32_e32 v169, v22, v169                              // 00000000590C: 0B535316
	v_mul_f32_e32 v170, v22, v170                              // 000000005910: 0B555516
	v_mul_f32_e32 v171, v22, v171                              // 000000005914: 0B575716
	v_cvt_i32_f32_e32 v168, v168                               // 000000005918: 7F5011A8
	v_cvt_i32_f32_e32 v169, v169                               // 00000000591C: 7F5211A9
	v_cvt_i32_f32_e32 v170, v170                               // 000000005920: 7F5411AA
	v_cvt_i32_f32_e32 v171, v171                               // 000000005924: 7F5611AB
	v_perm_b32 v138, v169, v168, s53                           // 000000005928: D1ED008A 00D751A9
	v_perm_b32 v138, v170, v138, s54                           // 000000005930: D1ED008A 00DB15AA
	v_perm_b32 v138, v171, v138, s55                           // 000000005938: D1ED008A 00DF15AB
	v_mul_f32_e32 v172, v23, v172                              // 000000005940: 0B595917
	v_mul_f32_e32 v173, v23, v173                              // 000000005944: 0B5B5B17
	v_mul_f32_e32 v174, v23, v174                              // 000000005948: 0B5D5D17
	v_mul_f32_e32 v175, v23, v175                              // 00000000594C: 0B5F5F17
	v_cvt_i32_f32_e32 v172, v172                               // 000000005950: 7F5811AC
	v_cvt_i32_f32_e32 v173, v173                               // 000000005954: 7F5A11AD
	v_cvt_i32_f32_e32 v174, v174                               // 000000005958: 7F5C11AE
	v_cvt_i32_f32_e32 v175, v175                               // 00000000595C: 7F5E11AF
	v_perm_b32 v139, v173, v172, s53                           // 000000005960: D1ED008B 00D759AD
	v_perm_b32 v139, v174, v139, s54                           // 000000005968: D1ED008B 00DB17AE
	v_perm_b32 v139, v175, v139, s55                           // 000000005970: D1ED008B 00DF17AF
	v_mul_f32_e32 v176, v22, v176                              // 000000005978: 0B616116
	v_mul_f32_e32 v177, v22, v177                              // 00000000597C: 0B636316
	v_mul_f32_e32 v178, v22, v178                              // 000000005980: 0B656516
	v_mul_f32_e32 v179, v22, v179                              // 000000005984: 0B676716
	v_cvt_i32_f32_e32 v176, v176                               // 000000005988: 7F6011B0
	v_cvt_i32_f32_e32 v177, v177                               // 00000000598C: 7F6211B1
	v_cvt_i32_f32_e32 v178, v178                               // 000000005990: 7F6411B2
	v_cvt_i32_f32_e32 v179, v179                               // 000000005994: 7F6611B3
	v_perm_b32 v140, v177, v176, s53                           // 000000005998: D1ED008C 00D761B1
	v_perm_b32 v140, v178, v140, s54                           // 0000000059A0: D1ED008C 00DB19B2
	v_perm_b32 v140, v179, v140, s55                           // 0000000059A8: D1ED008C 00DF19B3
	v_mul_f32_e32 v180, v23, v180                              // 0000000059B0: 0B696917
	v_mul_f32_e32 v181, v23, v181                              // 0000000059B4: 0B6B6B17
	v_mul_f32_e32 v182, v23, v182                              // 0000000059B8: 0B6D6D17
	v_mul_f32_e32 v183, v23, v183                              // 0000000059BC: 0B6F6F17
	v_cvt_i32_f32_e32 v180, v180                               // 0000000059C0: 7F6811B4
	v_cvt_i32_f32_e32 v181, v181                               // 0000000059C4: 7F6A11B5
	v_cvt_i32_f32_e32 v182, v182                               // 0000000059C8: 7F6C11B6
	v_cvt_i32_f32_e32 v183, v183                               // 0000000059CC: 7F6E11B7
	v_perm_b32 v141, v181, v180, s53                           // 0000000059D0: D1ED008D 00D769B5
	v_perm_b32 v141, v182, v141, s54                           // 0000000059D8: D1ED008D 00DB1BB6
	v_perm_b32 v141, v183, v141, s55                           // 0000000059E0: D1ED008D 00DF1BB7
	v_mul_f32_e32 v184, v22, v184                              // 0000000059E8: 0B717116
	v_mul_f32_e32 v185, v22, v185                              // 0000000059EC: 0B737316
	v_mul_f32_e32 v186, v22, v186                              // 0000000059F0: 0B757516
	v_mul_f32_e32 v187, v22, v187                              // 0000000059F4: 0B777716
	v_cvt_i32_f32_e32 v184, v184                               // 0000000059F8: 7F7011B8
	v_cvt_i32_f32_e32 v185, v185                               // 0000000059FC: 7F7211B9
	v_cvt_i32_f32_e32 v186, v186                               // 000000005A00: 7F7411BA
	v_cvt_i32_f32_e32 v187, v187                               // 000000005A04: 7F7611BB
	v_perm_b32 v142, v185, v184, s53                           // 000000005A08: D1ED008E 00D771B9
	v_perm_b32 v142, v186, v142, s54                           // 000000005A10: D1ED008E 00DB1DBA
	v_perm_b32 v142, v187, v142, s55                           // 000000005A18: D1ED008E 00DF1DBB
	v_mul_f32_e32 v188, v23, v188                              // 000000005A20: 0B797917
	v_mul_f32_e32 v189, v23, v189                              // 000000005A24: 0B7B7B17
	v_mul_f32_e32 v190, v23, v190                              // 000000005A28: 0B7D7D17
	v_mul_f32_e32 v191, v23, v191                              // 000000005A2C: 0B7F7F17
	v_cvt_i32_f32_e32 v188, v188                               // 000000005A30: 7F7811BC
	v_cvt_i32_f32_e32 v189, v189                               // 000000005A34: 7F7A11BD
	v_cvt_i32_f32_e32 v190, v190                               // 000000005A38: 7F7C11BE
	v_cvt_i32_f32_e32 v191, v191                               // 000000005A3C: 7F7E11BF
	v_perm_b32 v143, v189, v188, s53                           // 000000005A40: D1ED008F 00D779BD
	v_perm_b32 v143, v190, v143, s54                           // 000000005A48: D1ED008F 00DB1FBE
	v_perm_b32 v143, v191, v143, s55                           // 000000005A50: D1ED008F 00DF1FBF
	v_rcp_f32_e32 v24, v22                                     // 000000005A58: 7E304516
	v_rcp_f32_e32 v25, v23                                     // 000000005A5C: 7E324517
	v_lshrrev_b32_e32 v54, 5, v0                               // 000000005A60: 206C0085
	v_lshlrev_b32_e32 v55, 5, v54                              // 000000005A64: 246E6C85
	v_and_b32_e32 v54, 31, v0                                  // 000000005A68: 266C009F
	v_lshrrev_b32_e32 v56, 4, v54                              // 000000005A6C: 20706C84
	v_add_u32_e32 v55, v56, v55                                // 000000005A70: 686E6F38
	v_and_b32_e32 v54, 15, v0                                  // 000000005A74: 266C008F
	v_lshlrev_b32_e32 v54, 1, v54                              // 000000005A78: 246C6C81
	v_add_u32_e32 v55, v54, v55                                // 000000005A7C: 686E6F36
	v_lshlrev_b32_e32 v54, 2, v55                              // 000000005A80: 246C6E82
	s_mul_i32 s60, 0x100, s5                                   // 000000005A84: 923C05FF 00000100
	v_add_u32_e64 v54, v54, s60                                // 000000005A8C: D1340036 00007936
	ds_write_b32 v54, v128 offset:18688                        // 000000005A94: D81A4900 00008036
	ds_write_b32 v54, v129 offset:26880                        // 000000005A9C: D81A6900 00008136
	ds_write_b32 v54, v130 offset:19712                        // 000000005AA4: D81A4D00 00008236
	ds_write_b32 v54, v131 offset:27904                        // 000000005AAC: D81A6D00 00008336
	ds_write_b32 v54, v132 offset:20736                        // 000000005AB4: D81A5100 00008436
	ds_write_b32 v54, v133 offset:28928                        // 000000005ABC: D81A7100 00008536
	ds_write_b32 v54, v134 offset:21760                        // 000000005AC4: D81A5500 00008636
	ds_write_b32 v54, v135 offset:29952                        // 000000005ACC: D81A7500 00008736
	ds_write_b32 v54, v136 offset:22784                        // 000000005AD4: D81A5900 00008836
	ds_write_b32 v54, v137 offset:30976                        // 000000005ADC: D81A7900 00008936
	ds_write_b32 v54, v138 offset:23808                        // 000000005AE4: D81A5D00 00008A36
	ds_write_b32 v54, v139 offset:32000                        // 000000005AEC: D81A7D00 00008B36
	ds_write_b32 v54, v140 offset:24832                        // 000000005AF4: D81A6100 00008C36
	ds_write_b32 v54, v141 offset:33024                        // 000000005AFC: D81A8100 00008D36
	ds_write_b32 v54, v142 offset:25856                        // 000000005B04: D81A6500 00008E36
	ds_write_b32 v54, v143 offset:34048                        // 000000005B0C: D81A8500 00008F36
	s_waitcnt lgkmcnt(0)                                       // 000000005B14: BF8CC07F
	s_barrier                                                  // 000000005B18: BF8A0000
	v_lshrrev_b32_e32 v54, 4, v0                               // 000000005B1C: 206C0084
	v_lshlrev_b32_e32 v55, 6, v54                              // 000000005B20: 246E6C86
	v_and_b32_e32 v54, 15, v0                                  // 000000005B24: 266C008F
	v_lshlrev_b32_e32 v54, 1, v54                              // 000000005B28: 246C6C81
	v_add_u32_e32 v55, v54, v55                                // 000000005B2C: 686E6F36
	v_lshlrev_b32_e32 v54, 2, v55                              // 000000005B30: 246C6E82
	ds_read_b64 v[128:129], v54 offset:18688                   // 000000005B34: D8EC4900 80000036
	ds_read_b64 v[130:131], v54 offset:18816                   // 000000005B3C: D8EC4980 82000036
	ds_read_b64 v[132:133], v54 offset:19712                   // 000000005B44: D8EC4D00 84000036
	ds_read_b64 v[134:135], v54 offset:19840                   // 000000005B4C: D8EC4D80 86000036
	ds_read_b64 v[136:137], v54 offset:20736                   // 000000005B54: D8EC5100 88000036
	ds_read_b64 v[138:139], v54 offset:20864                   // 000000005B5C: D8EC5180 8A000036
	ds_read_b64 v[140:141], v54 offset:21760                   // 000000005B64: D8EC5500 8C000036
	ds_read_b64 v[142:143], v54 offset:21888                   // 000000005B6C: D8EC5580 8E000036
	ds_read_b64 v[144:145], v54 offset:22784                   // 000000005B74: D8EC5900 90000036
	ds_read_b64 v[146:147], v54 offset:22912                   // 000000005B7C: D8EC5980 92000036
	ds_read_b64 v[148:149], v54 offset:23808                   // 000000005B84: D8EC5D00 94000036
	ds_read_b64 v[150:151], v54 offset:23936                   // 000000005B8C: D8EC5D80 96000036
	ds_read_b64 v[152:153], v54 offset:24832                   // 000000005B94: D8EC6100 98000036
	ds_read_b64 v[154:155], v54 offset:24960                   // 000000005B9C: D8EC6180 9A000036
	ds_read_b64 v[156:157], v54 offset:25856                   // 000000005BA4: D8EC6500 9C000036
	ds_read_b64 v[158:159], v54 offset:25984                   // 000000005BAC: D8EC6580 9E000036
	ds_read_b64 v[160:161], v54 offset:26880                   // 000000005BB4: D8EC6900 A0000036
	ds_read_b64 v[162:163], v54 offset:27008                   // 000000005BBC: D8EC6980 A2000036
	ds_read_b64 v[164:165], v54 offset:27904                   // 000000005BC4: D8EC6D00 A4000036
	ds_read_b64 v[166:167], v54 offset:28032                   // 000000005BCC: D8EC6D80 A6000036
	ds_read_b64 v[168:169], v54 offset:28928                   // 000000005BD4: D8EC7100 A8000036
	ds_read_b64 v[170:171], v54 offset:29056                   // 000000005BDC: D8EC7180 AA000036
	ds_read_b64 v[172:173], v54 offset:29952                   // 000000005BE4: D8EC7500 AC000036
	ds_read_b64 v[174:175], v54 offset:30080                   // 000000005BEC: D8EC7580 AE000036
	ds_read_b64 v[176:177], v54 offset:30976                   // 000000005BF4: D8EC7900 B0000036
	ds_read_b64 v[178:179], v54 offset:31104                   // 000000005BFC: D8EC7980 B2000036
	ds_read_b64 v[180:181], v54 offset:32000                   // 000000005C04: D8EC7D00 B4000036
	ds_read_b64 v[182:183], v54 offset:32128                   // 000000005C0C: D8EC7D80 B6000036
	ds_read_b64 v[184:185], v54 offset:33024                   // 000000005C14: D8EC8100 B8000036
	ds_read_b64 v[186:187], v54 offset:33152                   // 000000005C1C: D8EC8180 BA000036
	ds_read_b64 v[188:189], v54 offset:34048                   // 000000005C24: D8EC8500 BC000036
	ds_read_b64 v[190:191], v54 offset:34176                   // 000000005C2C: D8EC8580 BE000036
	s_add_u32 s12, s56, s12                                    // 000000005C34: 800C0C38
	s_addc_u32 s13, 0, s13                                     // 000000005C38: 820D0D80
	s_add_u32 s16, s79, s16                                    // 000000005C3C: 8010104F
	s_addc_u32 s17, 0, s17                                     // 000000005C40: 82111180
	s_waitcnt lgkmcnt(0)                                       // 000000005C44: BF8CC07F
	s_barrier                                                  // 000000005C48: BF8A0000
	v_mov_b32_e32 v192, 0                                      // 000000005C4C: 7F800280
	v_mov_b32_e32 v224, 0                                      // 000000005C50: 7FC00280
	v_mov_b32_e32 v193, 0                                      // 000000005C54: 7F820280
	v_mov_b32_e32 v225, 0                                      // 000000005C58: 7FC20280
	v_mov_b32_e32 v194, 0                                      // 000000005C5C: 7F840280
	v_mov_b32_e32 v226, 0                                      // 000000005C60: 7FC40280
	v_mov_b32_e32 v195, 0                                      // 000000005C64: 7F860280
	v_mov_b32_e32 v227, 0                                      // 000000005C68: 7FC60280
	v_mov_b32_e32 v196, 0                                      // 000000005C6C: 7F880280
	v_mov_b32_e32 v228, 0                                      // 000000005C70: 7FC80280
	v_mov_b32_e32 v197, 0                                      // 000000005C74: 7F8A0280
	v_mov_b32_e32 v229, 0                                      // 000000005C78: 7FCA0280
	v_mov_b32_e32 v198, 0                                      // 000000005C7C: 7F8C0280
	v_mov_b32_e32 v230, 0                                      // 000000005C80: 7FCC0280
	v_mov_b32_e32 v199, 0                                      // 000000005C84: 7F8E0280
	v_mov_b32_e32 v231, 0                                      // 000000005C88: 7FCE0280
	v_mov_b32_e32 v200, 0                                      // 000000005C8C: 7F900280
	v_mov_b32_e32 v232, 0                                      // 000000005C90: 7FD00280
	v_mov_b32_e32 v201, 0                                      // 000000005C94: 7F920280
	v_mov_b32_e32 v233, 0                                      // 000000005C98: 7FD20280
	v_mov_b32_e32 v202, 0                                      // 000000005C9C: 7F940280
	v_mov_b32_e32 v234, 0                                      // 000000005CA0: 7FD40280
	v_mov_b32_e32 v203, 0                                      // 000000005CA4: 7F960280
	v_mov_b32_e32 v235, 0                                      // 000000005CA8: 7FD60280
	v_mov_b32_e32 v204, 0                                      // 000000005CAC: 7F980280
	v_mov_b32_e32 v236, 0                                      // 000000005CB0: 7FD80280
	v_mov_b32_e32 v205, 0                                      // 000000005CB4: 7F9A0280
	v_mov_b32_e32 v237, 0                                      // 000000005CB8: 7FDA0280
	v_mov_b32_e32 v206, 0                                      // 000000005CBC: 7F9C0280
	v_mov_b32_e32 v238, 0                                      // 000000005CC0: 7FDC0280
	v_mov_b32_e32 v207, 0                                      // 000000005CC4: 7F9E0280
	v_mov_b32_e32 v239, 0                                      // 000000005CC8: 7FDE0280
	ds_write_b64 v3, v[192:193] offset:18688                   // 000000005CCC: D89A4900 0000C003
	ds_write_b64 v3, v[194:195] offset:27392                   // 000000005CD4: D89A6B00 0000C203
	ds_write_b64 v3, v[196:197] offset:20864                   // 000000005CDC: D89A5180 0000C403
	ds_write_b64 v3, v[198:199] offset:29568                   // 000000005CE4: D89A7380 0000C603
	ds_write_b64 v3, v[200:201] offset:23040                   // 000000005CEC: D89A5A00 0000C803
	ds_write_b64 v3, v[202:203] offset:31744                   // 000000005CF4: D89A7C00 0000CA03
	ds_write_b64 v3, v[204:205] offset:25216                   // 000000005CFC: D89A6280 0000CC03
	ds_write_b64 v3, v[206:207] offset:33920                   // 000000005D04: D89A8480 0000CE03
	s_mov_b32 s80, 0                                           // 000000005D0C: BED00080
	s_waitcnt vmcnt(0) expcnt(0) lgkmcnt(0)                    // 000000005D10: BF8C0000

0000000000005d14 <label_0BC5>:
	s_waitcnt vmcnt(25) lgkmcnt(0)                             // 000000005D14: BF8C4079
	s_barrier                                                  // 000000005D18: BF8A0000
	v_mfma_i32_16x16x32_i8 v[192:195], a[0:1], v[128:129], 0   // 000000005D1C: D3D700C0 0A030100
	ds_read_b32 v64, v4 offset:18688                           // 000000005D24: D86C4900 40000004
	ds_read_b32 v65, v4 offset:23040                           // 000000005D2C: D86C5A00 41000004
	v_mfma_i32_16x16x32_i8 v[192:195], a[2:3], v[130:131], v[192:195]// 000000005D34: D3D700C0 0F030502
	buffer_load_dwordx4 a[128:131], v42, s[12:15], 0 offen     // 000000005D3C: E05C1000 8083802A
	v_mfma_i32_16x16x32_i8 v[192:195], a[4:5], v[132:133], v[192:195]// 000000005D44: D3D700C0 0F030904
	ds_read_b32 v66, v4 offset:18720                           // 000000005D4C: D86C4920 42000004
	ds_read_b32 v67, v4 offset:23072                           // 000000005D54: D86C5A20 43000004
	v_mfma_i32_16x16x32_i8 v[192:195], a[6:7], v[134:135], v[192:195]// 000000005D5C: D3D700C0 0F030D06
	v_mfma_i32_16x16x32_i8 v[192:195], a[8:9], v[136:137], v[192:195]// 000000005D64: D3D700C0 0F031108
	ds_read_b32 v68, v4 offset:18752                           // 000000005D6C: D86C4940 44000004
	ds_read_b32 v69, v4 offset:23104                           // 000000005D74: D86C5A40 45000004
	v_mfma_i32_16x16x32_i8 v[192:195], a[10:11], v[138:139], v[192:195]// 000000005D7C: D3D700C0 0F03150A
	buffer_load_dwordx4 a[132:135], v42, s[12:15], 0 offen offset:1024// 000000005D84: E05C1400 8083842A
	v_mfma_i32_16x16x32_i8 v[192:195], a[12:13], v[140:141], v[192:195]// 000000005D8C: D3D700C0 0F03190C
	ds_read_b32 v70, v4 offset:18784                           // 000000005D94: D86C4960 46000004
	ds_read_b32 v71, v4 offset:23136                           // 000000005D9C: D86C5A60 47000004
	v_mfma_i32_16x16x32_i8 v[192:195], a[14:15], v[142:143], v[192:195]// 000000005DA4: D3D700C0 0F031D0E
	v_mfma_i32_16x16x32_i8 v[196:199], a[0:1], v[160:161], 0   // 000000005DAC: D3D700C4 0A034100
	ds_read_b32 v72, v4 offset:27392                           // 000000005DB4: D86C6B00 48000004
	ds_read_b32 v73, v4 offset:31744                           // 000000005DBC: D86C7C00 49000004
	v_mfma_i32_16x16x32_i8 v[196:199], a[2:3], v[162:163], v[196:199]// 000000005DC4: D3D700C4 0F134502
	buffer_load_dwordx4 a[136:139], v42, s[12:15], 0 offen offset:2048// 000000005DCC: E05C1800 8083882A
	v_mfma_i32_16x16x32_i8 v[196:199], a[4:5], v[164:165], v[196:199]// 000000005DD4: D3D700C4 0F134904
	ds_read_b32 v74, v4 offset:27424                           // 000000005DDC: D86C6B20 4A000004
	ds_read_b32 v75, v4 offset:31776                           // 000000005DE4: D86C7C20 4B000004
	v_mfma_i32_16x16x32_i8 v[196:199], a[6:7], v[166:167], v[196:199]// 000000005DEC: D3D700C4 0F134D06
	v_mfma_i32_16x16x32_i8 v[196:199], a[8:9], v[168:169], v[196:199]// 000000005DF4: D3D700C4 0F135108
	ds_read_b32 v76, v4 offset:27456                           // 000000005DFC: D86C6B40 4C000004
	ds_read_b32 v77, v4 offset:31808                           // 000000005E04: D86C7C40 4D000004
	v_mfma_i32_16x16x32_i8 v[196:199], a[10:11], v[170:171], v[196:199]// 000000005E0C: D3D700C4 0F13550A
	buffer_load_dwordx4 a[140:143], v42, s[12:15], 0 offen offset:3072// 000000005E14: E05C1C00 80838C2A
	v_mfma_i32_16x16x32_i8 v[196:199], a[12:13], v[172:173], v[196:199]// 000000005E1C: D3D700C4 0F13590C
	ds_read_b32 v78, v4 offset:27488                           // 000000005E24: D86C6B60 4E000004
	ds_read_b32 v79, v4 offset:31840                           // 000000005E2C: D86C7C60 4F000004
	v_mfma_i32_16x16x32_i8 v[196:199], a[14:15], v[174:175], v[196:199]// 000000005E34: D3D700C4 0F135D0E
	v_mfma_i32_16x16x32_i8 v[200:203], a[16:17], v[128:129], 0 // 000000005E3C: D3D700C8 0A030110
	v_mfma_i32_16x16x32_i8 v[200:203], a[18:19], v[130:131], v[200:203]// 000000005E44: D3D700C8 0F230512
	buffer_load_dwordx4 a[144:147], v43, s[12:15], 0 offen     // 000000005E4C: E05C1000 8083902B
	v_mfma_i32_16x16x32_i8 v[200:203], a[20:21], v[132:133], v[200:203]// 000000005E54: D3D700C8 0F230914
	v_mfma_i32_16x16x32_i8 v[200:203], a[22:23], v[134:135], v[200:203]// 000000005E5C: D3D700C8 0F230D16
	v_mfma_i32_16x16x32_i8 v[200:203], a[24:25], v[136:137], v[200:203]// 000000005E64: D3D700C8 0F231118
	v_mfma_i32_16x16x32_i8 v[200:203], a[26:27], v[138:139], v[200:203]// 000000005E6C: D3D700C8 0F23151A
	buffer_load_dwordx4 a[148:151], v43, s[12:15], 0 offen offset:1024// 000000005E74: E05C1400 8083942B
	v_mfma_i32_16x16x32_i8 v[200:203], a[28:29], v[140:141], v[200:203]// 000000005E7C: D3D700C8 0F23191C
	v_mfma_i32_16x16x32_i8 v[200:203], a[30:31], v[142:143], v[200:203]// 000000005E84: D3D700C8 0F231D1E
	v_mfma_i32_16x16x32_i8 v[204:207], a[16:17], v[160:161], 0 // 000000005E8C: D3D700CC 0A034110
	v_mfma_i32_16x16x32_i8 v[204:207], a[18:19], v[162:163], v[204:207]// 000000005E94: D3D700CC 0F334512
	buffer_load_dwordx4 a[152:155], v43, s[12:15], 0 offen offset:2048// 000000005E9C: E05C1800 8083982B
	v_mfma_i32_16x16x32_i8 v[204:207], a[20:21], v[164:165], v[204:207]// 000000005EA4: D3D700CC 0F334914
	v_mfma_i32_16x16x32_i8 v[204:207], a[22:23], v[166:167], v[204:207]// 000000005EAC: D3D700CC 0F334D16
	v_mfma_i32_16x16x32_i8 v[204:207], a[24:25], v[168:169], v[204:207]// 000000005EB4: D3D700CC 0F335118
	v_mfma_i32_16x16x32_i8 v[204:207], a[26:27], v[170:171], v[204:207]// 000000005EBC: D3D700CC 0F33551A
	buffer_load_dwordx4 a[156:159], v43, s[12:15], 0 offen offset:3072// 000000005EC4: E05C1C00 80839C2B
	v_mfma_i32_16x16x32_i8 v[204:207], a[28:29], v[172:173], v[204:207]// 000000005ECC: D3D700CC 0F33591C
	v_mfma_i32_16x16x32_i8 v[204:207], a[30:31], v[174:175], v[204:207]// 000000005ED4: D3D700CC 0F335D1E
	s_waitcnt vmcnt(25)                                        // 000000005EDC: BF8C4F79
	v_mfma_i32_16x16x32_i8 v[208:211], a[32:33], v[128:129], 0 // 000000005EE0: D3D700D0 0A030120
	v_mfma_i32_16x16x32_i8 v[208:211], a[34:35], v[130:131], v[208:211]// 000000005EE8: D3D700D0 0F430522
	buffer_load_dwordx4 a[160:163], v44, s[12:15], 0 offen     // 000000005EF0: E05C1000 8083A02C
	v_mfma_i32_16x16x32_i8 v[208:211], a[36:37], v[132:133], v[208:211]// 000000005EF8: D3D700D0 0F430924
	v_mfma_i32_16x16x32_i8 v[208:211], a[38:39], v[134:135], v[208:211]// 000000005F00: D3D700D0 0F430D26
	v_mfma_i32_16x16x32_i8 v[208:211], a[40:41], v[136:137], v[208:211]// 000000005F08: D3D700D0 0F431128
	v_mfma_i32_16x16x32_i8 v[208:211], a[42:43], v[138:139], v[208:211]// 000000005F10: D3D700D0 0F43152A
	buffer_load_dwordx4 a[164:167], v44, s[12:15], 0 offen offset:1024// 000000005F18: E05C1400 8083A42C
	v_mfma_i32_16x16x32_i8 v[208:211], a[44:45], v[140:141], v[208:211]// 000000005F20: D3D700D0 0F43192C
	v_mfma_i32_16x16x32_i8 v[208:211], a[46:47], v[142:143], v[208:211]// 000000005F28: D3D700D0 0F431D2E
	v_mfma_i32_16x16x32_i8 v[212:215], a[32:33], v[160:161], 0 // 000000005F30: D3D700D4 0A034120
	v_mfma_i32_16x16x32_i8 v[212:215], a[34:35], v[162:163], v[212:215]// 000000005F38: D3D700D4 0F534522
	buffer_load_dwordx4 a[168:171], v44, s[12:15], 0 offen offset:2048// 000000005F40: E05C1800 8083A82C
	v_mfma_i32_16x16x32_i8 v[212:215], a[36:37], v[164:165], v[212:215]// 000000005F48: D3D700D4 0F534924
	v_mfma_i32_16x16x32_i8 v[212:215], a[38:39], v[166:167], v[212:215]// 000000005F50: D3D700D4 0F534D26
	v_mfma_i32_16x16x32_i8 v[212:215], a[40:41], v[168:169], v[212:215]// 000000005F58: D3D700D4 0F535128
	v_mfma_i32_16x16x32_i8 v[212:215], a[42:43], v[170:171], v[212:215]// 000000005F60: D3D700D4 0F53552A
	buffer_load_dwordx4 a[172:175], v44, s[12:15], 0 offen offset:3072// 000000005F68: E05C1C00 8083AC2C
	v_mfma_i32_16x16x32_i8 v[212:215], a[44:45], v[172:173], v[212:215]// 000000005F70: D3D700D4 0F53592C
	v_mfma_i32_16x16x32_i8 v[212:215], a[46:47], v[174:175], v[212:215]// 000000005F78: D3D700D4 0F535D2E
	v_mfma_i32_16x16x32_i8 v[216:219], a[48:49], v[128:129], 0 // 000000005F80: D3D700D8 0A030130
	v_mfma_i32_16x16x32_i8 v[216:219], a[50:51], v[130:131], v[216:219]// 000000005F88: D3D700D8 0F630532
	buffer_load_dwordx4 a[176:179], v45, s[12:15], 0 offen     // 000000005F90: E05C1000 8083B02D
	v_mfma_i32_16x16x32_i8 v[216:219], a[52:53], v[132:133], v[216:219]// 000000005F98: D3D700D8 0F630934
	v_mfma_i32_16x16x32_i8 v[216:219], a[54:55], v[134:135], v[216:219]// 000000005FA0: D3D700D8 0F630D36
	v_mfma_i32_16x16x32_i8 v[216:219], a[56:57], v[136:137], v[216:219]// 000000005FA8: D3D700D8 0F631138
	v_mfma_i32_16x16x32_i8 v[216:219], a[58:59], v[138:139], v[216:219]// 000000005FB0: D3D700D8 0F63153A
	buffer_load_dwordx4 a[180:183], v45, s[12:15], 0 offen offset:1024// 000000005FB8: E05C1400 8083B42D
	v_mfma_i32_16x16x32_i8 v[216:219], a[60:61], v[140:141], v[216:219]// 000000005FC0: D3D700D8 0F63193C
	v_mfma_i32_16x16x32_i8 v[216:219], a[62:63], v[142:143], v[216:219]// 000000005FC8: D3D700D8 0F631D3E
	v_mfma_i32_16x16x32_i8 v[220:223], a[48:49], v[160:161], 0 // 000000005FD0: D3D700DC 0A034130
	v_mfma_i32_16x16x32_i8 v[220:223], a[50:51], v[162:163], v[220:223]// 000000005FD8: D3D700DC 0F734532
	buffer_load_dwordx4 a[184:187], v45, s[12:15], 0 offen offset:2048// 000000005FE0: E05C1800 8083B82D
	v_mfma_i32_16x16x32_i8 v[220:223], a[52:53], v[164:165], v[220:223]// 000000005FE8: D3D700DC 0F734934
	v_mfma_i32_16x16x32_i8 v[220:223], a[54:55], v[166:167], v[220:223]// 000000005FF0: D3D700DC 0F734D36
	v_mfma_i32_16x16x32_i8 v[220:223], a[56:57], v[168:169], v[220:223]// 000000005FF8: D3D700DC 0F735138
	v_mfma_i32_16x16x32_i8 v[220:223], a[58:59], v[170:171], v[220:223]// 000000006000: D3D700DC 0F73553A
	buffer_load_dwordx4 a[188:191], v45, s[12:15], 0 offen offset:3072// 000000006008: E05C1C00 8083BC2D
	s_add_u32 s12, s78, s12                                    // 000000006010: 800C0C4E
	s_addc_u32 s13, 0, s13                                     // 000000006014: 820D0D80
	v_mfma_i32_16x16x32_i8 v[220:223], a[60:61], v[172:173], v[220:223]// 000000006018: D3D700DC 0F73593C
	v_mfma_i32_16x16x32_i8 v[220:223], a[62:63], v[174:175], v[220:223]// 000000006020: D3D700DC 0F735D3E
	s_waitcnt vmcnt(25)                                        // 000000006028: BF8C4F79
	v_mfma_i32_16x16x32_i8 v[192:195], a[64:65], v[144:145], v[192:195]// 00000000602C: D3D700C0 0F032140
	ds_write_b64 v3, v[224:225] offset:36096                   // 000000006034: D89A8D00 0000E003
	v_mfma_i32_16x16x32_i8 v[192:195], a[66:67], v[146:147], v[192:195]// 00000000603C: D3D700C0 0F032542
	buffer_load_dwordx4 a[192:195], v42, s[12:15], 0 offen     // 000000006044: E05C1000 8083C02A
	v_mfma_i32_16x16x32_i8 v[192:195], a[68:69], v[148:149], v[192:195]// 00000000604C: D3D700C0 0F032944
	ds_write_b64 v3, v[226:227] offset:44800                   // 000000006054: D89AAF00 0000E203
	v_mfma_i32_16x16x32_i8 v[192:195], a[70:71], v[150:151], v[192:195]// 00000000605C: D3D700C0 0F032D46
	v_mfma_i32_16x16x32_i8 v[192:195], a[72:73], v[152:153], v[192:195]// 000000006064: D3D700C0 0F033148
	ds_write_b64 v3, v[228:229] offset:38272                   // 00000000606C: D89A9580 0000E403
	v_mfma_i32_16x16x32_i8 v[192:195], a[74:75], v[154:155], v[192:195]// 000000006074: D3D700C0 0F03354A
	buffer_load_dwordx4 a[196:199], v42, s[12:15], 0 offen offset:1024// 00000000607C: E05C1400 8083C42A
	v_mfma_i32_16x16x32_i8 v[192:195], a[76:77], v[156:157], v[192:195]// 000000006084: D3D700C0 0F03394C
	ds_write_b64 v3, v[230:231] offset:46976                   // 00000000608C: D89AB780 0000E603
	v_mfma_i32_16x16x32_i8 v[192:195], a[78:79], v[158:159], v[192:195]// 000000006094: D3D700C0 0F033D4E
	v_mfma_i32_16x16x32_i8 v[196:199], a[64:65], v[176:177], v[196:199]// 00000000609C: D3D700C4 0F136140
	ds_write_b64 v3, v[232:233] offset:40448                   // 0000000060A4: D89A9E00 0000E803
	v_mfma_i32_16x16x32_i8 v[196:199], a[66:67], v[178:179], v[196:199]// 0000000060AC: D3D700C4 0F136542
	buffer_load_dwordx4 a[200:203], v42, s[12:15], 0 offen offset:2048// 0000000060B4: E05C1800 8083C82A
	v_mfma_i32_16x16x32_i8 v[196:199], a[68:69], v[180:181], v[196:199]// 0000000060BC: D3D700C4 0F136944
	ds_write_b64 v3, v[234:235] offset:49152                   // 0000000060C4: D89AC000 0000EA03
	v_mfma_i32_16x16x32_i8 v[196:199], a[70:71], v[182:183], v[196:199]// 0000000060CC: D3D700C4 0F136D46
	v_mfma_i32_16x16x32_i8 v[196:199], a[72:73], v[184:185], v[196:199]// 0000000060D4: D3D700C4 0F137148
	ds_write_b64 v3, v[236:237] offset:42624                   // 0000000060DC: D89AA680 0000EC03
	v_mfma_i32_16x16x32_i8 v[196:199], a[74:75], v[186:187], v[196:199]// 0000000060E4: D3D700C4 0F13754A
	buffer_load_dwordx4 a[204:207], v42, s[12:15], 0 offen offset:3072// 0000000060EC: E05C1C00 8083CC2A
	v_mfma_i32_16x16x32_i8 v[196:199], a[76:77], v[188:189], v[196:199]// 0000000060F4: D3D700C4 0F13794C
	ds_write_b64 v3, v[238:239] offset:51328                   // 0000000060FC: D89AC880 0000EE03
	v_mfma_i32_16x16x32_i8 v[196:199], a[78:79], v[190:191], v[196:199]// 000000006104: D3D700C4 0F137D4E
	v_mfma_i32_16x16x32_i8 v[200:203], a[80:81], v[144:145], v[200:203]// 00000000610C: D3D700C8 0F232150
	v_mfma_i32_16x16x32_i8 v[200:203], a[82:83], v[146:147], v[200:203]// 000000006114: D3D700C8 0F232552
	buffer_load_dwordx4 a[208:211], v43, s[12:15], 0 offen     // 00000000611C: E05C1000 8083D02B
	v_mfma_i32_16x16x32_i8 v[200:203], a[84:85], v[148:149], v[200:203]// 000000006124: D3D700C8 0F232954
	v_mfma_i32_16x16x32_i8 v[200:203], a[86:87], v[150:151], v[200:203]// 00000000612C: D3D700C8 0F232D56
	v_mfma_i32_16x16x32_i8 v[200:203], a[88:89], v[152:153], v[200:203]// 000000006134: D3D700C8 0F233158
	v_mfma_i32_16x16x32_i8 v[200:203], a[90:91], v[154:155], v[200:203]// 00000000613C: D3D700C8 0F23355A
	buffer_load_dwordx4 a[212:215], v43, s[12:15], 0 offen offset:1024// 000000006144: E05C1400 8083D42B
	v_mfma_i32_16x16x32_i8 v[200:203], a[92:93], v[156:157], v[200:203]// 00000000614C: D3D700C8 0F23395C
	v_mfma_i32_16x16x32_i8 v[200:203], a[94:95], v[158:159], v[200:203]// 000000006154: D3D700C8 0F233D5E
	v_mfma_i32_16x16x32_i8 v[204:207], a[80:81], v[176:177], v[204:207]// 00000000615C: D3D700CC 0F336150
	v_mfma_i32_16x16x32_i8 v[204:207], a[82:83], v[178:179], v[204:207]// 000000006164: D3D700CC 0F336552
	buffer_load_dwordx4 a[216:219], v43, s[12:15], 0 offen offset:2048// 00000000616C: E05C1800 8083D82B
	v_mfma_i32_16x16x32_i8 v[204:207], a[84:85], v[180:181], v[204:207]// 000000006174: D3D700CC 0F336954
	v_mfma_i32_16x16x32_i8 v[204:207], a[86:87], v[182:183], v[204:207]// 00000000617C: D3D700CC 0F336D56
	v_mfma_i32_16x16x32_i8 v[204:207], a[88:89], v[184:185], v[204:207]// 000000006184: D3D700CC 0F337158
	v_mfma_i32_16x16x32_i8 v[204:207], a[90:91], v[186:187], v[204:207]// 00000000618C: D3D700CC 0F33755A
	buffer_load_dwordx4 a[220:223], v43, s[12:15], 0 offen offset:3072// 000000006194: E05C1C00 8083DC2B
	v_mfma_i32_16x16x32_i8 v[204:207], a[92:93], v[188:189], v[204:207]// 00000000619C: D3D700CC 0F33795C
	v_mfma_i32_16x16x32_i8 v[204:207], a[94:95], v[190:191], v[204:207]// 0000000061A4: D3D700CC 0F337D5E
	s_waitcnt vmcnt(24)                                        // 0000000061AC: BF8C4F78
	v_mfma_i32_16x16x32_i8 v[208:211], a[96:97], v[144:145], v[208:211]// 0000000061B0: D3D700D0 0F432160
	v_mfma_i32_16x16x32_i8 v[208:211], a[98:99], v[146:147], v[208:211]// 0000000061B8: D3D700D0 0F432562
	buffer_load_dwordx4 a[224:227], v44, s[12:15], 0 offen     // 0000000061C0: E05C1000 8083E02C
	v_mfma_i32_16x16x32_i8 v[208:211], a[100:101], v[148:149], v[208:211]// 0000000061C8: D3D700D0 0F432964
	v_mfma_i32_16x16x32_i8 v[208:211], a[102:103], v[150:151], v[208:211]// 0000000061D0: D3D700D0 0F432D66
	buffer_load_dword v13, v5, s[16:19], 0 offen               // 0000000061D8: E0501000 80040D05
	v_mfma_i32_16x16x32_i8 v[208:211], a[104:105], v[152:153], v[208:211]// 0000000061E0: D3D700D0 0F433168
	v_mfma_i32_16x16x32_i8 v[208:211], a[106:107], v[154:155], v[208:211]// 0000000061E8: D3D700D0 0F43356A
	buffer_load_dwordx4 a[228:231], v44, s[12:15], 0 offen offset:1024// 0000000061F0: E05C1400 8083E42C
	v_mfma_i32_16x16x32_i8 v[208:211], a[108:109], v[156:157], v[208:211]// 0000000061F8: D3D700D0 0F43396C
	v_mfma_i32_16x16x32_i8 v[208:211], a[110:111], v[158:159], v[208:211]// 000000006200: D3D700D0 0F433D6E
	v_mfma_i32_16x16x32_i8 v[212:215], a[96:97], v[176:177], v[212:215]// 000000006208: D3D700D4 0F536160
	v_mfma_i32_16x16x32_i8 v[212:215], a[98:99], v[178:179], v[212:215]// 000000006210: D3D700D4 0F536562
	buffer_load_dwordx4 a[232:235], v44, s[12:15], 0 offen offset:2048// 000000006218: E05C1800 8083E82C
	v_mfma_i32_16x16x32_i8 v[212:215], a[100:101], v[180:181], v[212:215]// 000000006220: D3D700D4 0F536964
	s_add_u32 s60, 0x200, s80                                  // 000000006228: 803C50FF 00000200
	s_cmp_lt_u32 s60, s81                                      // 000000006230: BF0A513C
	v_mfma_i32_16x16x32_i8 v[212:215], a[102:103], v[182:183], v[212:215]// 000000006234: D3D700D4 0F536D66
	s_cselect_b32 s56, s56, 0                                  // 00000000623C: 85388038
	s_cselect_b32 s78, s78, 0                                  // 000000006240: 854E804E
	s_cselect_b32 s79, s79, 0                                  // 000000006244: 854F804F
	v_mfma_i32_16x16x32_i8 v[212:215], a[104:105], v[184:185], v[212:215]// 000000006248: D3D700D4 0F537168
	v_mfma_i32_16x16x32_i8 v[212:215], a[106:107], v[186:187], v[212:215]// 000000006250: D3D700D4 0F53756A
	buffer_load_dwordx4 a[236:239], v44, s[12:15], 0 offen offset:3072// 000000006258: E05C1C00 8083EC2C
	v_mfma_i32_16x16x32_i8 v[212:215], a[108:109], v[188:189], v[212:215]// 000000006260: D3D700D4 0F53796C
	s_add_u32 s16, s79, s16                                    // 000000006268: 8010104F
	s_addc_u32 s17, 0, s17                                     // 00000000626C: 82111180
	v_mfma_i32_16x16x32_i8 v[212:215], a[110:111], v[190:191], v[212:215]// 000000006270: D3D700D4 0F537D6E
	v_mfma_i32_16x16x32_i8 v[216:219], a[112:113], v[144:145], v[216:219]// 000000006278: D3D700D8 0F632170
	v_mfma_i32_16x16x32_i8 v[216:219], a[114:115], v[146:147], v[216:219]// 000000006280: D3D700D8 0F632572
	buffer_load_dwordx4 a[240:243], v45, s[12:15], 0 offen     // 000000006288: E05C1000 8083F02D
	v_mfma_i32_16x16x32_i8 v[216:219], a[116:117], v[148:149], v[216:219]// 000000006290: D3D700D8 0F632974
	v_mfma_i32_16x16x32_i8 v[216:219], a[118:119], v[150:151], v[216:219]// 000000006298: D3D700D8 0F632D76
	v_mfma_i32_16x16x32_i8 v[216:219], a[120:121], v[152:153], v[216:219]// 0000000062A0: D3D700D8 0F633178
	v_mfma_i32_16x16x32_i8 v[216:219], a[122:123], v[154:155], v[216:219]// 0000000062A8: D3D700D8 0F63357A
	buffer_load_dwordx4 a[244:247], v45, s[12:15], 0 offen offset:1024// 0000000062B0: E05C1400 8083F42D
	v_mfma_i32_16x16x32_i8 v[216:219], a[124:125], v[156:157], v[216:219]// 0000000062B8: D3D700D8 0F63397C
	v_mfma_i32_16x16x32_i8 v[216:219], a[126:127], v[158:159], v[216:219]// 0000000062C0: D3D700D8 0F633D7E
	v_mfma_i32_16x16x32_i8 v[220:223], a[112:113], v[176:177], v[220:223]// 0000000062C8: D3D700DC 0F736170
	v_mfma_i32_16x16x32_i8 v[220:223], a[114:115], v[178:179], v[220:223]// 0000000062D0: D3D700DC 0F736572
	buffer_load_dwordx4 a[248:251], v45, s[12:15], 0 offen offset:2048// 0000000062D8: E05C1800 8083F82D
	v_mfma_i32_16x16x32_i8 v[220:223], a[116:117], v[180:181], v[220:223]// 0000000062E0: D3D700DC 0F736974
	v_mfma_i32_16x16x32_i8 v[220:223], a[118:119], v[182:183], v[220:223]// 0000000062E8: D3D700DC 0F736D76
	v_mfma_i32_16x16x32_i8 v[220:223], a[120:121], v[184:185], v[220:223]// 0000000062F0: D3D700DC 0F737178
	v_mfma_i32_16x16x32_i8 v[220:223], a[122:123], v[186:187], v[220:223]// 0000000062F8: D3D700DC 0F73757A
	buffer_load_dwordx4 a[252:255], v45, s[12:15], 0 offen offset:3072// 000000006300: E05C1C00 8083FC2D
	v_mfma_i32_16x16x32_i8 v[220:223], a[124:125], v[188:189], v[220:223]// 000000006308: D3D700DC 0F73797C
	s_add_u32 s12, s56, s12                                    // 000000006310: 800C0C38
	s_addc_u32 s13, 0, s13                                     // 000000006314: 820D0D80
	v_mfma_i32_16x16x32_i8 v[220:223], a[126:127], v[190:191], v[220:223]// 000000006318: D3D700DC 0F737D7E
	v_mov_b32_e32 v96, v24                                     // 000000006320: 7EC00318
	v_mov_b32_e32 v100, v20                                    // 000000006324: 7EC80314
	v_mov_b32_e32 v97, v24                                     // 000000006328: 7EC20318
	v_mov_b32_e32 v101, v20                                    // 00000000632C: 7ECA0314
	v_mov_b32_e32 v98, v25                                     // 000000006330: 7EC40319
	v_mov_b32_e32 v102, v21                                    // 000000006334: 7ECC0315
	v_mov_b32_e32 v99, v25                                     // 000000006338: 7EC60319
	v_mov_b32_e32 v103, v21                                    // 00000000633C: 7ECE0315
	v_cvt_f32_i32_e32 v192, v192                               // 000000006340: 7F800BC0
	v_cvt_f32_i32_e32 v193, v193                               // 000000006344: 7F820BC1
	v_cvt_f32_i32_e32 v194, v194                               // 000000006348: 7F840BC2
	v_cvt_f32_i32_e32 v195, v195                               // 00000000634C: 7F860BC3
	v_pk_mul_f32 v[192:193], v[96:97], v[192:193]              // 000000006350: D3B140C0 18038160
	v_pk_mul_f32 v[194:195], v[96:97], v[194:195]              // 000000006358: D3B140C2 18038560
	v_mul_f32_dpp v192, v12, v192 row_newbcast:0 row_mask:0xf bank_mask:0xf// 000000006360: 0B8180FA FF01500C
	v_mul_f32_dpp v193, v12, v193 row_newbcast:1 row_mask:0xf bank_mask:0xf// 000000006368: 0B8382FA FF01510C
	v_mul_f32_dpp v194, v12, v194 row_newbcast:2 row_mask:0xf bank_mask:0xf// 000000006370: 0B8584FA FF01520C
	v_mul_f32_dpp v195, v12, v195 row_newbcast:3 row_mask:0xf bank_mask:0xf// 000000006378: 0B8786FA FF01530C
	v_pk_mul_f32 v[192:193], v[100:101], v[192:193]            // 000000006380: D3B140C0 18038164
	v_pk_mul_f32 v[194:195], v[100:101], v[194:195]            // 000000006388: D3B140C2 18038564
	v_cvt_f32_i32_e32 v196, v196                               // 000000006390: 7F880BC4
	v_cvt_f32_i32_e32 v197, v197                               // 000000006394: 7F8A0BC5
	v_cvt_f32_i32_e32 v198, v198                               // 000000006398: 7F8C0BC6
	v_cvt_f32_i32_e32 v199, v199                               // 00000000639C: 7F8E0BC7
	v_pk_mul_f32 v[196:197], v[98:99], v[196:197]              // 0000000063A0: D3B140C4 18038962
	v_pk_mul_f32 v[198:199], v[98:99], v[198:199]              // 0000000063A8: D3B140C6 18038D62
	v_mul_f32_dpp v196, v12, v196 row_newbcast:0 row_mask:0xf bank_mask:0xf// 0000000063B0: 0B8988FA FF01500C
	v_mul_f32_dpp v197, v12, v197 row_newbcast:1 row_mask:0xf bank_mask:0xf// 0000000063B8: 0B8B8AFA FF01510C
	v_mul_f32_dpp v198, v12, v198 row_newbcast:2 row_mask:0xf bank_mask:0xf// 0000000063C0: 0B8D8CFA FF01520C
	v_mul_f32_dpp v199, v12, v199 row_newbcast:3 row_mask:0xf bank_mask:0xf// 0000000063C8: 0B8F8EFA FF01530C
	v_pk_mul_f32 v[196:197], v[102:103], v[196:197]            // 0000000063D0: D3B140C4 18038966
	v_pk_mul_f32 v[198:199], v[102:103], v[198:199]            // 0000000063D8: D3B140C6 18038D66
	v_cvt_f32_i32_e32 v200, v200                               // 0000000063E0: 7F900BC8
	v_cvt_f32_i32_e32 v201, v201                               // 0000000063E4: 7F920BC9
	v_cvt_f32_i32_e32 v202, v202                               // 0000000063E8: 7F940BCA
	v_cvt_f32_i32_e32 v203, v203                               // 0000000063EC: 7F960BCB
	v_pk_mul_f32 v[200:201], v[96:97], v[200:201]              // 0000000063F0: D3B140C8 18039160
	v_pk_mul_f32 v[202:203], v[96:97], v[202:203]              // 0000000063F8: D3B140CA 18039560
	v_mul_f32_dpp v200, v12, v200 row_newbcast:4 row_mask:0xf bank_mask:0xf// 000000006400: 0B9190FA FF01540C
	v_mul_f32_dpp v201, v12, v201 row_newbcast:5 row_mask:0xf bank_mask:0xf// 000000006408: 0B9392FA FF01550C
	v_mul_f32_dpp v202, v12, v202 row_newbcast:6 row_mask:0xf bank_mask:0xf// 000000006410: 0B9594FA FF01560C
	v_mul_f32_dpp v203, v12, v203 row_newbcast:7 row_mask:0xf bank_mask:0xf// 000000006418: 0B9796FA FF01570C
	v_pk_mul_f32 v[200:201], v[100:101], v[200:201]            // 000000006420: D3B140C8 18039164
	v_pk_mul_f32 v[202:203], v[100:101], v[202:203]            // 000000006428: D3B140CA 18039564
	v_cvt_f32_i32_e32 v204, v204                               // 000000006430: 7F980BCC
	v_cvt_f32_i32_e32 v205, v205                               // 000000006434: 7F9A0BCD
	v_cvt_f32_i32_e32 v206, v206                               // 000000006438: 7F9C0BCE
	v_cvt_f32_i32_e32 v207, v207                               // 00000000643C: 7F9E0BCF
	v_pk_mul_f32 v[204:205], v[98:99], v[204:205]              // 000000006440: D3B140CC 18039962
	v_pk_mul_f32 v[206:207], v[98:99], v[206:207]              // 000000006448: D3B140CE 18039D62
	v_mul_f32_dpp v204, v12, v204 row_newbcast:4 row_mask:0xf bank_mask:0xf// 000000006450: 0B9998FA FF01540C
	v_mul_f32_dpp v205, v12, v205 row_newbcast:5 row_mask:0xf bank_mask:0xf// 000000006458: 0B9B9AFA FF01550C
	v_mul_f32_dpp v206, v12, v206 row_newbcast:6 row_mask:0xf bank_mask:0xf// 000000006460: 0B9D9CFA FF01560C
	v_mul_f32_dpp v207, v12, v207 row_newbcast:7 row_mask:0xf bank_mask:0xf// 000000006468: 0B9F9EFA FF01570C
	v_pk_mul_f32 v[204:205], v[102:103], v[204:205]            // 000000006470: D3B140CC 18039966
	v_pk_mul_f32 v[206:207], v[102:103], v[206:207]            // 000000006478: D3B140CE 18039D66
	v_cvt_f32_i32_e32 v208, v208                               // 000000006480: 7FA00BD0
	v_cvt_f32_i32_e32 v209, v209                               // 000000006484: 7FA20BD1
	v_cvt_f32_i32_e32 v210, v210                               // 000000006488: 7FA40BD2
	v_cvt_f32_i32_e32 v211, v211                               // 00000000648C: 7FA60BD3
	v_pk_mul_f32 v[208:209], v[96:97], v[208:209]              // 000000006490: D3B140D0 1803A160
	v_pk_mul_f32 v[210:211], v[96:97], v[210:211]              // 000000006498: D3B140D2 1803A560
	v_mul_f32_dpp v208, v12, v208 row_newbcast:8 row_mask:0xf bank_mask:0xf// 0000000064A0: 0BA1A0FA FF01580C
	v_mul_f32_dpp v209, v12, v209 row_newbcast:9 row_mask:0xf bank_mask:0xf// 0000000064A8: 0BA3A2FA FF01590C
	v_mul_f32_dpp v210, v12, v210 row_newbcast:10 row_mask:0xf bank_mask:0xf// 0000000064B0: 0BA5A4FA FF015A0C
	v_mul_f32_dpp v211, v12, v211 row_newbcast:11 row_mask:0xf bank_mask:0xf// 0000000064B8: 0BA7A6FA FF015B0C
	v_pk_mul_f32 v[208:209], v[100:101], v[208:209]            // 0000000064C0: D3B140D0 1803A164
	v_pk_mul_f32 v[210:211], v[100:101], v[210:211]            // 0000000064C8: D3B140D2 1803A564
	v_cvt_f32_i32_e32 v212, v212                               // 0000000064D0: 7FA80BD4
	v_cvt_f32_i32_e32 v213, v213                               // 0000000064D4: 7FAA0BD5
	v_cvt_f32_i32_e32 v214, v214                               // 0000000064D8: 7FAC0BD6
	v_cvt_f32_i32_e32 v215, v215                               // 0000000064DC: 7FAE0BD7
	v_pk_mul_f32 v[212:213], v[98:99], v[212:213]              // 0000000064E0: D3B140D4 1803A962
	v_pk_mul_f32 v[214:215], v[98:99], v[214:215]              // 0000000064E8: D3B140D6 1803AD62
	v_mul_f32_dpp v212, v12, v212 row_newbcast:8 row_mask:0xf bank_mask:0xf// 0000000064F0: 0BA9A8FA FF01580C
	v_mul_f32_dpp v213, v12, v213 row_newbcast:9 row_mask:0xf bank_mask:0xf// 0000000064F8: 0BABAAFA FF01590C
	v_mul_f32_dpp v214, v12, v214 row_newbcast:10 row_mask:0xf bank_mask:0xf// 000000006500: 0BADACFA FF015A0C
	v_mul_f32_dpp v215, v12, v215 row_newbcast:11 row_mask:0xf bank_mask:0xf// 000000006508: 0BAFAEFA FF015B0C
	v_pk_mul_f32 v[212:213], v[102:103], v[212:213]            // 000000006510: D3B140D4 1803A966
	v_pk_mul_f32 v[214:215], v[102:103], v[214:215]            // 000000006518: D3B140D6 1803AD66
	v_cvt_f32_i32_e32 v216, v216                               // 000000006520: 7FB00BD8
	v_cvt_f32_i32_e32 v217, v217                               // 000000006524: 7FB20BD9
	v_cvt_f32_i32_e32 v218, v218                               // 000000006528: 7FB40BDA
	v_cvt_f32_i32_e32 v219, v219                               // 00000000652C: 7FB60BDB
	v_pk_mul_f32 v[216:217], v[96:97], v[216:217]              // 000000006530: D3B140D8 1803B160
	v_pk_mul_f32 v[218:219], v[96:97], v[218:219]              // 000000006538: D3B140DA 1803B560
	v_mul_f32_dpp v216, v12, v216 row_newbcast:12 row_mask:0xf bank_mask:0xf// 000000006540: 0BB1B0FA FF015C0C
	v_mul_f32_dpp v217, v12, v217 row_newbcast:13 row_mask:0xf bank_mask:0xf// 000000006548: 0BB3B2FA FF015D0C
	v_mul_f32_dpp v218, v12, v218 row_newbcast:14 row_mask:0xf bank_mask:0xf// 000000006550: 0BB5B4FA FF015E0C
	v_mul_f32_dpp v219, v12, v219 row_newbcast:15 row_mask:0xf bank_mask:0xf// 000000006558: 0BB7B6FA FF015F0C
	v_pk_mul_f32 v[216:217], v[100:101], v[216:217]            // 000000006560: D3B140D8 1803B164
	v_pk_mul_f32 v[218:219], v[100:101], v[218:219]            // 000000006568: D3B140DA 1803B564
	v_cvt_f32_i32_e32 v220, v220                               // 000000006570: 7FB80BDC
	v_cvt_f32_i32_e32 v221, v221                               // 000000006574: 7FBA0BDD
	v_cvt_f32_i32_e32 v222, v222                               // 000000006578: 7FBC0BDE
	v_cvt_f32_i32_e32 v223, v223                               // 00000000657C: 7FBE0BDF
	v_pk_mul_f32 v[220:221], v[98:99], v[220:221]              // 000000006580: D3B140DC 1803B962
	v_pk_mul_f32 v[222:223], v[98:99], v[222:223]              // 000000006588: D3B140DE 1803BD62
	v_mul_f32_dpp v220, v12, v220 row_newbcast:12 row_mask:0xf bank_mask:0xf// 000000006590: 0BB9B8FA FF015C0C
	v_mul_f32_dpp v221, v12, v221 row_newbcast:13 row_mask:0xf bank_mask:0xf// 000000006598: 0BBBBAFA FF015D0C
	v_mul_f32_dpp v222, v12, v222 row_newbcast:14 row_mask:0xf bank_mask:0xf// 0000000065A0: 0BBDBCFA FF015E0C
	v_mul_f32_dpp v223, v12, v223 row_newbcast:15 row_mask:0xf bank_mask:0xf// 0000000065A8: 0BBFBEFA FF015F0C
	v_pk_mul_f32 v[220:221], v[102:103], v[220:221]            // 0000000065B0: D3B140DC 1803B966
	v_pk_mul_f32 v[222:223], v[102:103], v[222:223]            // 0000000065B8: D3B140DE 1803BD66
	v_cmp_u_f32_e64 s[48:49], v192, v192                       // 0000000065C0: D0480030 000381C0
	v_add3_u32 v50, v192, v53, 1                               // 0000000065C8: D1FF0032 02066BC0
	v_cndmask_b32_e64 v54, v50, v52, s[48:49]                  // 0000000065D0: D1000036 00C26932
	v_cmp_u_f32_e64 s[48:49], v193, v193                       // 0000000065D8: D0480030 000383C1
	v_add3_u32 v50, v193, v53, 1                               // 0000000065E0: D1FF0032 02066BC1
	v_cndmask_b32_e64 v55, v50, v52, s[48:49]                  // 0000000065E8: D1000037 00C26932
	v_perm_b32 v192, v55, v54, s52                             // 0000000065F0: D1ED00C0 00D26D37
	v_cmp_u_f32_e64 s[48:49], v194, v194                       // 0000000065F8: D0480030 000385C2
	v_add3_u32 v50, v194, v53, 1                               // 000000006600: D1FF0032 02066BC2
	v_cndmask_b32_e64 v54, v50, v52, s[48:49]                  // 000000006608: D1000036 00C26932
	v_cmp_u_f32_e64 s[48:49], v195, v195                       // 000000006610: D0480030 000387C3
	v_add3_u32 v50, v195, v53, 1                               // 000000006618: D1FF0032 02066BC3
	v_cndmask_b32_e64 v55, v50, v52, s[48:49]                  // 000000006620: D1000037 00C26932
	v_perm_b32 v193, v55, v54, s52                             // 000000006628: D1ED00C1 00D26D37
	v_cmp_u_f32_e64 s[48:49], v196, v196                       // 000000006630: D0480030 000389C4
	v_add3_u32 v50, v196, v53, 1                               // 000000006638: D1FF0032 02066BC4
	v_cndmask_b32_e64 v54, v50, v52, s[48:49]                  // 000000006640: D1000036 00C26932
	v_cmp_u_f32_e64 s[48:49], v197, v197                       // 000000006648: D0480030 00038BC5
	v_add3_u32 v50, v197, v53, 1                               // 000000006650: D1FF0032 02066BC5
	v_cndmask_b32_e64 v55, v50, v52, s[48:49]                  // 000000006658: D1000037 00C26932
	v_perm_b32 v194, v55, v54, s52                             // 000000006660: D1ED00C2 00D26D37
	v_cmp_u_f32_e64 s[48:49], v198, v198                       // 000000006668: D0480030 00038DC6
	v_add3_u32 v50, v198, v53, 1                               // 000000006670: D1FF0032 02066BC6
	v_cndmask_b32_e64 v54, v50, v52, s[48:49]                  // 000000006678: D1000036 00C26932
	v_cmp_u_f32_e64 s[48:49], v199, v199                       // 000000006680: D0480030 00038FC7
	v_add3_u32 v50, v199, v53, 1                               // 000000006688: D1FF0032 02066BC7
	v_cndmask_b32_e64 v55, v50, v52, s[48:49]                  // 000000006690: D1000037 00C26932
	v_perm_b32 v195, v55, v54, s52                             // 000000006698: D1ED00C3 00D26D37
	v_cmp_u_f32_e64 s[48:49], v200, v200                       // 0000000066A0: D0480030 000391C8
	v_add3_u32 v50, v200, v53, 1                               // 0000000066A8: D1FF0032 02066BC8
	v_cndmask_b32_e64 v54, v50, v52, s[48:49]                  // 0000000066B0: D1000036 00C26932
	v_cmp_u_f32_e64 s[48:49], v201, v201                       // 0000000066B8: D0480030 000393C9
	v_add3_u32 v50, v201, v53, 1                               // 0000000066C0: D1FF0032 02066BC9
	v_cndmask_b32_e64 v55, v50, v52, s[48:49]                  // 0000000066C8: D1000037 00C26932
	v_perm_b32 v196, v55, v54, s52                             // 0000000066D0: D1ED00C4 00D26D37
	v_cmp_u_f32_e64 s[48:49], v202, v202                       // 0000000066D8: D0480030 000395CA
	v_add3_u32 v50, v202, v53, 1                               // 0000000066E0: D1FF0032 02066BCA
	v_cndmask_b32_e64 v54, v50, v52, s[48:49]                  // 0000000066E8: D1000036 00C26932
	v_cmp_u_f32_e64 s[48:49], v203, v203                       // 0000000066F0: D0480030 000397CB
	v_add3_u32 v50, v203, v53, 1                               // 0000000066F8: D1FF0032 02066BCB
	v_cndmask_b32_e64 v55, v50, v52, s[48:49]                  // 000000006700: D1000037 00C26932
	v_perm_b32 v197, v55, v54, s52                             // 000000006708: D1ED00C5 00D26D37
	v_cmp_u_f32_e64 s[48:49], v204, v204                       // 000000006710: D0480030 000399CC
	v_add3_u32 v50, v204, v53, 1                               // 000000006718: D1FF0032 02066BCC
	v_cndmask_b32_e64 v54, v50, v52, s[48:49]                  // 000000006720: D1000036 00C26932
	v_cmp_u_f32_e64 s[48:49], v205, v205                       // 000000006728: D0480030 00039BCD
	v_add3_u32 v50, v205, v53, 1                               // 000000006730: D1FF0032 02066BCD
	v_cndmask_b32_e64 v55, v50, v52, s[48:49]                  // 000000006738: D1000037 00C26932
	v_perm_b32 v198, v55, v54, s52                             // 000000006740: D1ED00C6 00D26D37
	v_cmp_u_f32_e64 s[48:49], v206, v206                       // 000000006748: D0480030 00039DCE
	v_add3_u32 v50, v206, v53, 1                               // 000000006750: D1FF0032 02066BCE
	v_cndmask_b32_e64 v54, v50, v52, s[48:49]                  // 000000006758: D1000036 00C26932
	v_cmp_u_f32_e64 s[48:49], v207, v207                       // 000000006760: D0480030 00039FCF
	v_add3_u32 v50, v207, v53, 1                               // 000000006768: D1FF0032 02066BCF
	v_cndmask_b32_e64 v55, v50, v52, s[48:49]                  // 000000006770: D1000037 00C26932
	v_perm_b32 v199, v55, v54, s52                             // 000000006778: D1ED00C7 00D26D37
	v_cmp_u_f32_e64 s[48:49], v208, v208                       // 000000006780: D0480030 0003A1D0
	v_add3_u32 v50, v208, v53, 1                               // 000000006788: D1FF0032 02066BD0
	v_cndmask_b32_e64 v54, v50, v52, s[48:49]                  // 000000006790: D1000036 00C26932
	v_cmp_u_f32_e64 s[48:49], v209, v209                       // 000000006798: D0480030 0003A3D1
	v_add3_u32 v50, v209, v53, 1                               // 0000000067A0: D1FF0032 02066BD1
	v_cndmask_b32_e64 v55, v50, v52, s[48:49]                  // 0000000067A8: D1000037 00C26932
	v_perm_b32 v200, v55, v54, s52                             // 0000000067B0: D1ED00C8 00D26D37
	v_cmp_u_f32_e64 s[48:49], v210, v210                       // 0000000067B8: D0480030 0003A5D2
	v_add3_u32 v50, v210, v53, 1                               // 0000000067C0: D1FF0032 02066BD2
	v_cndmask_b32_e64 v54, v50, v52, s[48:49]                  // 0000000067C8: D1000036 00C26932
	v_cmp_u_f32_e64 s[48:49], v211, v211                       // 0000000067D0: D0480030 0003A7D3
	v_add3_u32 v50, v211, v53, 1                               // 0000000067D8: D1FF0032 02066BD3
	v_cndmask_b32_e64 v55, v50, v52, s[48:49]                  // 0000000067E0: D1000037 00C26932
	v_perm_b32 v201, v55, v54, s52                             // 0000000067E8: D1ED00C9 00D26D37
	v_cmp_u_f32_e64 s[48:49], v212, v212                       // 0000000067F0: D0480030 0003A9D4
	v_add3_u32 v50, v212, v53, 1                               // 0000000067F8: D1FF0032 02066BD4
	v_cndmask_b32_e64 v54, v50, v52, s[48:49]                  // 000000006800: D1000036 00C26932
	v_cmp_u_f32_e64 s[48:49], v213, v213                       // 000000006808: D0480030 0003ABD5
	v_add3_u32 v50, v213, v53, 1                               // 000000006810: D1FF0032 02066BD5
	v_cndmask_b32_e64 v55, v50, v52, s[48:49]                  // 000000006818: D1000037 00C26932
	v_perm_b32 v202, v55, v54, s52                             // 000000006820: D1ED00CA 00D26D37
	v_cmp_u_f32_e64 s[48:49], v214, v214                       // 000000006828: D0480030 0003ADD6
	v_add3_u32 v50, v214, v53, 1                               // 000000006830: D1FF0032 02066BD6
	v_cndmask_b32_e64 v54, v50, v52, s[48:49]                  // 000000006838: D1000036 00C26932
	v_cmp_u_f32_e64 s[48:49], v215, v215                       // 000000006840: D0480030 0003AFD7
	v_add3_u32 v50, v215, v53, 1                               // 000000006848: D1FF0032 02066BD7
	v_cndmask_b32_e64 v55, v50, v52, s[48:49]                  // 000000006850: D1000037 00C26932
	v_perm_b32 v203, v55, v54, s52                             // 000000006858: D1ED00CB 00D26D37
	v_cmp_u_f32_e64 s[48:49], v216, v216                       // 000000006860: D0480030 0003B1D8
	v_add3_u32 v50, v216, v53, 1                               // 000000006868: D1FF0032 02066BD8
	v_cndmask_b32_e64 v54, v50, v52, s[48:49]                  // 000000006870: D1000036 00C26932
	v_cmp_u_f32_e64 s[48:49], v217, v217                       // 000000006878: D0480030 0003B3D9
	v_add3_u32 v50, v217, v53, 1                               // 000000006880: D1FF0032 02066BD9
	v_cndmask_b32_e64 v55, v50, v52, s[48:49]                  // 000000006888: D1000037 00C26932
	v_perm_b32 v204, v55, v54, s52                             // 000000006890: D1ED00CC 00D26D37
	v_cmp_u_f32_e64 s[48:49], v218, v218                       // 000000006898: D0480030 0003B5DA
	v_add3_u32 v50, v218, v53, 1                               // 0000000068A0: D1FF0032 02066BDA
	v_cndmask_b32_e64 v54, v50, v52, s[48:49]                  // 0000000068A8: D1000036 00C26932
	v_cmp_u_f32_e64 s[48:49], v219, v219                       // 0000000068B0: D0480030 0003B7DB
	v_add3_u32 v50, v219, v53, 1                               // 0000000068B8: D1FF0032 02066BDB
	v_cndmask_b32_e64 v55, v50, v52, s[48:49]                  // 0000000068C0: D1000037 00C26932
	v_perm_b32 v205, v55, v54, s52                             // 0000000068C8: D1ED00CD 00D26D37
	v_cmp_u_f32_e64 s[48:49], v220, v220                       // 0000000068D0: D0480030 0003B9DC
	v_add3_u32 v50, v220, v53, 1                               // 0000000068D8: D1FF0032 02066BDC
	v_cndmask_b32_e64 v54, v50, v52, s[48:49]                  // 0000000068E0: D1000036 00C26932
	v_cmp_u_f32_e64 s[48:49], v221, v221                       // 0000000068E8: D0480030 0003BBDD
	v_add3_u32 v50, v221, v53, 1                               // 0000000068F0: D1FF0032 02066BDD
	v_cndmask_b32_e64 v55, v50, v52, s[48:49]                  // 0000000068F8: D1000037 00C26932
	v_perm_b32 v206, v55, v54, s52                             // 000000006900: D1ED00CE 00D26D37
	v_cmp_u_f32_e64 s[48:49], v222, v222                       // 000000006908: D0480030 0003BDDE
	v_add3_u32 v50, v222, v53, 1                               // 000000006910: D1FF0032 02066BDE
	v_cndmask_b32_e64 v54, v50, v52, s[48:49]                  // 000000006918: D1000036 00C26932
	v_cmp_u_f32_e64 s[48:49], v223, v223                       // 000000006920: D0480030 0003BFDF
	v_add3_u32 v50, v223, v53, 1                               // 000000006928: D1FF0032 02066BDF
	v_cndmask_b32_e64 v55, v50, v52, s[48:49]                  // 000000006930: D1000037 00C26932
	v_perm_b32 v207, v55, v54, s52                             // 000000006938: D1ED00CF 00D26D37
	s_setvskip s20, 0                                          // 000000006940: BF108014
	global_atomic_pk_add_bf16 v80, v64, s[8:9]                 // 000000006944: DD488000 00084050
	s_setvskip 0, 0                                            // 00000000694C: BF108080
	s_setvskip s20, 0                                          // 000000006950: BF108014
	global_atomic_pk_add_bf16 v80, v65, s[8:9] offset:256      // 000000006954: DD488100 00084150
	s_setvskip 0, 0                                            // 00000000695C: BF108080
	s_setvskip s20, 1                                          // 000000006960: BF108114
	global_atomic_pk_add_bf16 v82, v66, s[8:9]                 // 000000006964: DD488000 00084252
	s_setvskip 0, 0                                            // 00000000696C: BF108080
	s_setvskip s20, 1                                          // 000000006970: BF108114
	global_atomic_pk_add_bf16 v82, v67, s[8:9] offset:256      // 000000006974: DD488100 00084352
	s_setvskip 0, 0                                            // 00000000697C: BF108080
	s_setvskip s20, 2                                          // 000000006980: BF108214
	global_atomic_pk_add_bf16 v84, v68, s[8:9]                 // 000000006984: DD488000 00084454
	s_setvskip 0, 0                                            // 00000000698C: BF108080
	s_setvskip s20, 2                                          // 000000006990: BF108214
	global_atomic_pk_add_bf16 v84, v69, s[8:9] offset:256      // 000000006994: DD488100 00084554
	s_setvskip 0, 0                                            // 00000000699C: BF108080
	s_setvskip s20, 3                                          // 0000000069A0: BF108314
	global_atomic_pk_add_bf16 v86, v70, s[8:9]                 // 0000000069A4: DD488000 00084656
	s_setvskip 0, 0                                            // 0000000069AC: BF108080
	s_setvskip s20, 3                                          // 0000000069B0: BF108314
	global_atomic_pk_add_bf16 v86, v71, s[8:9] offset:256      // 0000000069B4: DD488100 00084756
	s_setvskip 0, 0                                            // 0000000069BC: BF108080
	s_setvskip s20, 4                                          // 0000000069C0: BF108414
	global_atomic_pk_add_bf16 v88, v72, s[8:9]                 // 0000000069C4: DD488000 00084858
	s_setvskip 0, 0                                            // 0000000069CC: BF108080
	s_setvskip s20, 4                                          // 0000000069D0: BF108414
	global_atomic_pk_add_bf16 v88, v73, s[8:9] offset:256      // 0000000069D4: DD488100 00084958
	s_setvskip 0, 0                                            // 0000000069DC: BF108080
	s_setvskip s20, 5                                          // 0000000069E0: BF108514
	global_atomic_pk_add_bf16 v90, v74, s[8:9]                 // 0000000069E4: DD488000 00084A5A
	s_setvskip 0, 0                                            // 0000000069EC: BF108080
	s_setvskip s20, 5                                          // 0000000069F0: BF108514
	global_atomic_pk_add_bf16 v90, v75, s[8:9] offset:256      // 0000000069F4: DD488100 00084B5A
	s_setvskip 0, 0                                            // 0000000069FC: BF108080
	s_setvskip s20, 6                                          // 000000006A00: BF108614
	global_atomic_pk_add_bf16 v92, v76, s[8:9]                 // 000000006A04: DD488000 00084C5C
	s_setvskip 0, 0                                            // 000000006A0C: BF108080
	s_setvskip s20, 6                                          // 000000006A10: BF108614
	global_atomic_pk_add_bf16 v92, v77, s[8:9] offset:256      // 000000006A14: DD488100 00084D5C
	s_setvskip 0, 0                                            // 000000006A1C: BF108080
	s_setvskip s20, 7                                          // 000000006A20: BF108714
	global_atomic_pk_add_bf16 v94, v78, s[8:9]                 // 000000006A24: DD488000 00084E5E
	s_setvskip 0, 0                                            // 000000006A2C: BF108080
	s_setvskip s20, 7                                          // 000000006A30: BF108714
	global_atomic_pk_add_bf16 v94, v79, s[8:9] offset:256      // 000000006A34: DD488100 00084F5E
	s_setvskip 0, 0                                            // 000000006A3C: BF108080
	s_cmp_ge_u32 s80, 0x200                                    // 000000006A40: BF09FF50 00000200
	s_cselect_b32 s59, 0x200, s59                              // 000000006A48: 853B3BFF 00000200
	s_add_u32 s8, s59, s8                                      // 000000006A50: 8008083B
	s_addc_u32 s9, 0, s9                                       // 000000006A54: 82090980
	s_addk_i32 s80, 0x100                                      // 000000006A58: B7500100
	s_cmp_lt_i32 s80, s81                                      // 000000006A5C: BF045150
	s_cbranch_scc0 label_126E                                  // 000000006A60: BF840355
	s_waitcnt vmcnt(25) lgkmcnt(0)                             // 000000006A64: BF8C4079
	s_barrier                                                  // 000000006A68: BF8A0000
	v_mfma_i32_16x16x32_i8 v[224:227], a[128:129], v[128:129], 0// 000000006A6C: D3D700E0 0A030180
	ds_read_b32 v64, v4 offset:36096                           // 000000006A74: D86C8D00 40000004
	ds_read_b32 v65, v4 offset:40448                           // 000000006A7C: D86C9E00 41000004
	v_mfma_i32_16x16x32_i8 v[224:227], a[130:131], v[130:131], v[224:227]// 000000006A84: D3D700E0 0F830582
	buffer_load_dwordx4 a[0:3], v42, s[12:15], 0 offen         // 000000006A8C: E05C1000 8083002A
	v_mfma_i32_16x16x32_i8 v[224:227], a[132:133], v[132:133], v[224:227]// 000000006A94: D3D700E0 0F830984
	ds_read_b32 v66, v4 offset:36128                           // 000000006A9C: D86C8D20 42000004
	ds_read_b32 v67, v4 offset:40480                           // 000000006AA4: D86C9E20 43000004
	v_mfma_i32_16x16x32_i8 v[224:227], a[134:135], v[134:135], v[224:227]// 000000006AAC: D3D700E0 0F830D86
	v_mfma_i32_16x16x32_i8 v[224:227], a[136:137], v[136:137], v[224:227]// 000000006AB4: D3D700E0 0F831188
	ds_read_b32 v68, v4 offset:36160                           // 000000006ABC: D86C8D40 44000004
	ds_read_b32 v69, v4 offset:40512                           // 000000006AC4: D86C9E40 45000004
	v_mfma_i32_16x16x32_i8 v[224:227], a[138:139], v[138:139], v[224:227]// 000000006ACC: D3D700E0 0F83158A
	buffer_load_dwordx4 a[4:7], v42, s[12:15], 0 offen offset:1024// 000000006AD4: E05C1400 8083042A
	v_mfma_i32_16x16x32_i8 v[224:227], a[140:141], v[140:141], v[224:227]// 000000006ADC: D3D700E0 0F83198C
	ds_read_b32 v70, v4 offset:36192                           // 000000006AE4: D86C8D60 46000004
	ds_read_b32 v71, v4 offset:40544                           // 000000006AEC: D86C9E60 47000004
	v_mfma_i32_16x16x32_i8 v[224:227], a[142:143], v[142:143], v[224:227]// 000000006AF4: D3D700E0 0F831D8E
	v_mfma_i32_16x16x32_i8 v[228:231], a[128:129], v[160:161], 0// 000000006AFC: D3D700E4 0A034180
	ds_read_b32 v72, v4 offset:44800                           // 000000006B04: D86CAF00 48000004
	ds_read_b32 v73, v4 offset:49152                           // 000000006B0C: D86CC000 49000004
	v_mfma_i32_16x16x32_i8 v[228:231], a[130:131], v[162:163], v[228:231]// 000000006B14: D3D700E4 0F934582
	buffer_load_dwordx4 a[8:11], v42, s[12:15], 0 offen offset:2048// 000000006B1C: E05C1800 8083082A
	v_mfma_i32_16x16x32_i8 v[228:231], a[132:133], v[164:165], v[228:231]// 000000006B24: D3D700E4 0F934984
	ds_read_b32 v74, v4 offset:44832                           // 000000006B2C: D86CAF20 4A000004
	ds_read_b32 v75, v4 offset:49184                           // 000000006B34: D86CC020 4B000004
	v_mfma_i32_16x16x32_i8 v[228:231], a[134:135], v[166:167], v[228:231]// 000000006B3C: D3D700E4 0F934D86
	v_mfma_i32_16x16x32_i8 v[228:231], a[136:137], v[168:169], v[228:231]// 000000006B44: D3D700E4 0F935188
	ds_read_b32 v76, v4 offset:44864                           // 000000006B4C: D86CAF40 4C000004
	ds_read_b32 v77, v4 offset:49216                           // 000000006B54: D86CC040 4D000004
	v_mfma_i32_16x16x32_i8 v[228:231], a[138:139], v[170:171], v[228:231]// 000000006B5C: D3D700E4 0F93558A
	buffer_load_dwordx4 a[12:15], v42, s[12:15], 0 offen offset:3072// 000000006B64: E05C1C00 80830C2A
	v_mfma_i32_16x16x32_i8 v[228:231], a[140:141], v[172:173], v[228:231]// 000000006B6C: D3D700E4 0F93598C
	ds_read_b32 v78, v4 offset:44896                           // 000000006B74: D86CAF60 4E000004
	ds_read_b32 v79, v4 offset:49248                           // 000000006B7C: D86CC060 4F000004
	v_mfma_i32_16x16x32_i8 v[228:231], a[142:143], v[174:175], v[228:231]// 000000006B84: D3D700E4 0F935D8E
	v_mfma_i32_16x16x32_i8 v[232:235], a[144:145], v[128:129], 0// 000000006B8C: D3D700E8 0A030190
	v_mfma_i32_16x16x32_i8 v[232:235], a[146:147], v[130:131], v[232:235]// 000000006B94: D3D700E8 0FA30592
	buffer_load_dwordx4 a[16:19], v43, s[12:15], 0 offen       // 000000006B9C: E05C1000 8083102B
	v_mfma_i32_16x16x32_i8 v[232:235], a[148:149], v[132:133], v[232:235]// 000000006BA4: D3D700E8 0FA30994
	v_mfma_i32_16x16x32_i8 v[232:235], a[150:151], v[134:135], v[232:235]// 000000006BAC: D3D700E8 0FA30D96
	v_mfma_i32_16x16x32_i8 v[232:235], a[152:153], v[136:137], v[232:235]// 000000006BB4: D3D700E8 0FA31198
	v_mfma_i32_16x16x32_i8 v[232:235], a[154:155], v[138:139], v[232:235]// 000000006BBC: D3D700E8 0FA3159A
	buffer_load_dwordx4 a[20:23], v43, s[12:15], 0 offen offset:1024// 000000006BC4: E05C1400 8083142B
	v_mfma_i32_16x16x32_i8 v[232:235], a[156:157], v[140:141], v[232:235]// 000000006BCC: D3D700E8 0FA3199C
	v_mfma_i32_16x16x32_i8 v[232:235], a[158:159], v[142:143], v[232:235]// 000000006BD4: D3D700E8 0FA31D9E
	v_mfma_i32_16x16x32_i8 v[236:239], a[144:145], v[160:161], 0// 000000006BDC: D3D700EC 0A034190
	v_mfma_i32_16x16x32_i8 v[236:239], a[146:147], v[162:163], v[236:239]// 000000006BE4: D3D700EC 0FB34592
	buffer_load_dwordx4 a[24:27], v43, s[12:15], 0 offen offset:2048// 000000006BEC: E05C1800 8083182B
	v_mfma_i32_16x16x32_i8 v[236:239], a[148:149], v[164:165], v[236:239]// 000000006BF4: D3D700EC 0FB34994
	v_mfma_i32_16x16x32_i8 v[236:239], a[150:151], v[166:167], v[236:239]// 000000006BFC: D3D700EC 0FB34D96
	v_mfma_i32_16x16x32_i8 v[236:239], a[152:153], v[168:169], v[236:239]// 000000006C04: D3D700EC 0FB35198
	v_mfma_i32_16x16x32_i8 v[236:239], a[154:155], v[170:171], v[236:239]// 000000006C0C: D3D700EC 0FB3559A
	buffer_load_dwordx4 a[28:31], v43, s[12:15], 0 offen offset:3072// 000000006C14: E05C1C00 80831C2B
	v_mfma_i32_16x16x32_i8 v[236:239], a[156:157], v[172:173], v[236:239]// 000000006C1C: D3D700EC 0FB3599C
	v_mfma_i32_16x16x32_i8 v[236:239], a[158:159], v[174:175], v[236:239]// 000000006C24: D3D700EC 0FB35D9E
	s_waitcnt vmcnt(25)                                        // 000000006C2C: BF8C4F79
	v_mfma_i32_16x16x32_i8 v[240:243], a[160:161], v[128:129], 0// 000000006C30: D3D700F0 0A0301A0
	v_mfma_i32_16x16x32_i8 v[240:243], a[162:163], v[130:131], v[240:243]// 000000006C38: D3D700F0 0FC305A2
	buffer_load_dwordx4 a[32:35], v44, s[12:15], 0 offen       // 000000006C40: E05C1000 8083202C
	v_mfma_i32_16x16x32_i8 v[240:243], a[164:165], v[132:133], v[240:243]// 000000006C48: D3D700F0 0FC309A4
	v_mfma_i32_16x16x32_i8 v[240:243], a[166:167], v[134:135], v[240:243]// 000000006C50: D3D700F0 0FC30DA6
	v_mfma_i32_16x16x32_i8 v[240:243], a[168:169], v[136:137], v[240:243]// 000000006C58: D3D700F0 0FC311A8
	v_mfma_i32_16x16x32_i8 v[240:243], a[170:171], v[138:139], v[240:243]// 000000006C60: D3D700F0 0FC315AA
	buffer_load_dwordx4 a[36:39], v44, s[12:15], 0 offen offset:1024// 000000006C68: E05C1400 8083242C
	v_mfma_i32_16x16x32_i8 v[240:243], a[172:173], v[140:141], v[240:243]// 000000006C70: D3D700F0 0FC319AC
	v_mfma_i32_16x16x32_i8 v[240:243], a[174:175], v[142:143], v[240:243]// 000000006C78: D3D700F0 0FC31DAE
	v_mfma_i32_16x16x32_i8 v[244:247], a[160:161], v[160:161], 0// 000000006C80: D3D700F4 0A0341A0
	v_mfma_i32_16x16x32_i8 v[244:247], a[162:163], v[162:163], v[244:247]// 000000006C88: D3D700F4 0FD345A2
	buffer_load_dwordx4 a[40:43], v44, s[12:15], 0 offen offset:2048// 000000006C90: E05C1800 8083282C
	v_mfma_i32_16x16x32_i8 v[244:247], a[164:165], v[164:165], v[244:247]// 000000006C98: D3D700F4 0FD349A4
	v_mfma_i32_16x16x32_i8 v[244:247], a[166:167], v[166:167], v[244:247]// 000000006CA0: D3D700F4 0FD34DA6
	v_mfma_i32_16x16x32_i8 v[244:247], a[168:169], v[168:169], v[244:247]// 000000006CA8: D3D700F4 0FD351A8
	v_mfma_i32_16x16x32_i8 v[244:247], a[170:171], v[170:171], v[244:247]// 000000006CB0: D3D700F4 0FD355AA
	buffer_load_dwordx4 a[44:47], v44, s[12:15], 0 offen offset:3072// 000000006CB8: E05C1C00 80832C2C
	v_mfma_i32_16x16x32_i8 v[244:247], a[172:173], v[172:173], v[244:247]// 000000006CC0: D3D700F4 0FD359AC
	v_mfma_i32_16x16x32_i8 v[244:247], a[174:175], v[174:175], v[244:247]// 000000006CC8: D3D700F4 0FD35DAE
	v_mfma_i32_16x16x32_i8 v[248:251], a[176:177], v[128:129], 0// 000000006CD0: D3D700F8 0A0301B0
	v_mfma_i32_16x16x32_i8 v[248:251], a[178:179], v[130:131], v[248:251]// 000000006CD8: D3D700F8 0FE305B2
	buffer_load_dwordx4 a[48:51], v45, s[12:15], 0 offen       // 000000006CE0: E05C1000 8083302D
	v_mfma_i32_16x16x32_i8 v[248:251], a[180:181], v[132:133], v[248:251]// 000000006CE8: D3D700F8 0FE309B4
	v_mfma_i32_16x16x32_i8 v[248:251], a[182:183], v[134:135], v[248:251]// 000000006CF0: D3D700F8 0FE30DB6
	v_mfma_i32_16x16x32_i8 v[248:251], a[184:185], v[136:137], v[248:251]// 000000006CF8: D3D700F8 0FE311B8
	v_mfma_i32_16x16x32_i8 v[248:251], a[186:187], v[138:139], v[248:251]// 000000006D00: D3D700F8 0FE315BA
	buffer_load_dwordx4 a[52:55], v45, s[12:15], 0 offen offset:1024// 000000006D08: E05C1400 8083342D
	v_mfma_i32_16x16x32_i8 v[248:251], a[188:189], v[140:141], v[248:251]// 000000006D10: D3D700F8 0FE319BC
	v_mfma_i32_16x16x32_i8 v[248:251], a[190:191], v[142:143], v[248:251]// 000000006D18: D3D700F8 0FE31DBE
	v_mfma_i32_16x16x32_i8 v[252:255], a[176:177], v[160:161], 0// 000000006D20: D3D700FC 0A0341B0
	v_mfma_i32_16x16x32_i8 v[252:255], a[178:179], v[162:163], v[252:255]// 000000006D28: D3D700FC 0FF345B2
	buffer_load_dwordx4 a[56:59], v45, s[12:15], 0 offen offset:2048// 000000006D30: E05C1800 8083382D
	v_mfma_i32_16x16x32_i8 v[252:255], a[180:181], v[164:165], v[252:255]// 000000006D38: D3D700FC 0FF349B4
	v_mfma_i32_16x16x32_i8 v[252:255], a[182:183], v[166:167], v[252:255]// 000000006D40: D3D700FC 0FF34DB6
	v_mfma_i32_16x16x32_i8 v[252:255], a[184:185], v[168:169], v[252:255]// 000000006D48: D3D700FC 0FF351B8
	v_mfma_i32_16x16x32_i8 v[252:255], a[186:187], v[170:171], v[252:255]// 000000006D50: D3D700FC 0FF355BA
	buffer_load_dwordx4 a[60:63], v45, s[12:15], 0 offen offset:3072// 000000006D58: E05C1C00 80833C2D
	s_add_u32 s12, s78, s12                                    // 000000006D60: 800C0C4E
	s_addc_u32 s13, 0, s13                                     // 000000006D64: 820D0D80
	v_mfma_i32_16x16x32_i8 v[252:255], a[188:189], v[172:173], v[252:255]// 000000006D68: D3D700FC 0FF359BC
	v_mfma_i32_16x16x32_i8 v[252:255], a[190:191], v[174:175], v[252:255]// 000000006D70: D3D700FC 0FF35DBE
	s_waitcnt vmcnt(25)                                        // 000000006D78: BF8C4F79
	v_mfma_i32_16x16x32_i8 v[224:227], a[192:193], v[144:145], v[224:227]// 000000006D7C: D3D700E0 0F8321C0
	ds_write_b64 v3, v[192:193] offset:18688                   // 000000006D84: D89A4900 0000C003
	v_mfma_i32_16x16x32_i8 v[224:227], a[194:195], v[146:147], v[224:227]// 000000006D8C: D3D700E0 0F8325C2
	buffer_load_dwordx4 a[64:67], v42, s[12:15], 0 offen       // 000000006D94: E05C1000 8083402A
	v_mfma_i32_16x16x32_i8 v[224:227], a[196:197], v[148:149], v[224:227]// 000000006D9C: D3D700E0 0F8329C4
	ds_write_b64 v3, v[194:195] offset:27392                   // 000000006DA4: D89A6B00 0000C203
	v_mfma_i32_16x16x32_i8 v[224:227], a[198:199], v[150:151], v[224:227]// 000000006DAC: D3D700E0 0F832DC6
	v_mfma_i32_16x16x32_i8 v[224:227], a[200:201], v[152:153], v[224:227]// 000000006DB4: D3D700E0 0F8331C8
	ds_write_b64 v3, v[196:197] offset:20864                   // 000000006DBC: D89A5180 0000C403
	v_mfma_i32_16x16x32_i8 v[224:227], a[202:203], v[154:155], v[224:227]// 000000006DC4: D3D700E0 0F8335CA
	buffer_load_dwordx4 a[68:71], v42, s[12:15], 0 offen offset:1024// 000000006DCC: E05C1400 8083442A
	v_mfma_i32_16x16x32_i8 v[224:227], a[204:205], v[156:157], v[224:227]// 000000006DD4: D3D700E0 0F8339CC
	ds_write_b64 v3, v[198:199] offset:29568                   // 000000006DDC: D89A7380 0000C603
	v_mfma_i32_16x16x32_i8 v[224:227], a[206:207], v[158:159], v[224:227]// 000000006DE4: D3D700E0 0F833DCE
	v_mfma_i32_16x16x32_i8 v[228:231], a[192:193], v[176:177], v[228:231]// 000000006DEC: D3D700E4 0F9361C0
	ds_write_b64 v3, v[200:201] offset:23040                   // 000000006DF4: D89A5A00 0000C803
	v_mfma_i32_16x16x32_i8 v[228:231], a[194:195], v[178:179], v[228:231]// 000000006DFC: D3D700E4 0F9365C2
	buffer_load_dwordx4 a[72:75], v42, s[12:15], 0 offen offset:2048// 000000006E04: E05C1800 8083482A
	v_mfma_i32_16x16x32_i8 v[228:231], a[196:197], v[180:181], v[228:231]// 000000006E0C: D3D700E4 0F9369C4
	ds_write_b64 v3, v[202:203] offset:31744                   // 000000006E14: D89A7C00 0000CA03
	v_mfma_i32_16x16x32_i8 v[228:231], a[198:199], v[182:183], v[228:231]// 000000006E1C: D3D700E4 0F936DC6
	v_mfma_i32_16x16x32_i8 v[228:231], a[200:201], v[184:185], v[228:231]// 000000006E24: D3D700E4 0F9371C8
	ds_write_b64 v3, v[204:205] offset:25216                   // 000000006E2C: D89A6280 0000CC03
	v_mfma_i32_16x16x32_i8 v[228:231], a[202:203], v[186:187], v[228:231]// 000000006E34: D3D700E4 0F9375CA
	buffer_load_dwordx4 a[76:79], v42, s[12:15], 0 offen offset:3072// 000000006E3C: E05C1C00 80834C2A
	v_mfma_i32_16x16x32_i8 v[228:231], a[204:205], v[188:189], v[228:231]// 000000006E44: D3D700E4 0F9379CC
	ds_write_b64 v3, v[206:207] offset:33920                   // 000000006E4C: D89A8480 0000CE03
	v_mfma_i32_16x16x32_i8 v[228:231], a[206:207], v[190:191], v[228:231]// 000000006E54: D3D700E4 0F937DCE
	v_mfma_i32_16x16x32_i8 v[232:235], a[208:209], v[144:145], v[232:235]// 000000006E5C: D3D700E8 0FA321D0
	v_mfma_i32_16x16x32_i8 v[232:235], a[210:211], v[146:147], v[232:235]// 000000006E64: D3D700E8 0FA325D2
	buffer_load_dwordx4 a[80:83], v43, s[12:15], 0 offen       // 000000006E6C: E05C1000 8083502B
	v_mfma_i32_16x16x32_i8 v[232:235], a[212:213], v[148:149], v[232:235]// 000000006E74: D3D700E8 0FA329D4
	v_mfma_i32_16x16x32_i8 v[232:235], a[214:215], v[150:151], v[232:235]// 000000006E7C: D3D700E8 0FA32DD6
	v_mfma_i32_16x16x32_i8 v[232:235], a[216:217], v[152:153], v[232:235]// 000000006E84: D3D700E8 0FA331D8
	v_mfma_i32_16x16x32_i8 v[232:235], a[218:219], v[154:155], v[232:235]// 000000006E8C: D3D700E8 0FA335DA
	buffer_load_dwordx4 a[84:87], v43, s[12:15], 0 offen offset:1024// 000000006E94: E05C1400 8083542B
	v_mfma_i32_16x16x32_i8 v[232:235], a[220:221], v[156:157], v[232:235]// 000000006E9C: D3D700E8 0FA339DC
	v_mfma_i32_16x16x32_i8 v[232:235], a[222:223], v[158:159], v[232:235]// 000000006EA4: D3D700E8 0FA33DDE
	v_mfma_i32_16x16x32_i8 v[236:239], a[208:209], v[176:177], v[236:239]// 000000006EAC: D3D700EC 0FB361D0
	v_mfma_i32_16x16x32_i8 v[236:239], a[210:211], v[178:179], v[236:239]// 000000006EB4: D3D700EC 0FB365D2
	buffer_load_dwordx4 a[88:91], v43, s[12:15], 0 offen offset:2048// 000000006EBC: E05C1800 8083582B
	v_mfma_i32_16x16x32_i8 v[236:239], a[212:213], v[180:181], v[236:239]// 000000006EC4: D3D700EC 0FB369D4
	v_mfma_i32_16x16x32_i8 v[236:239], a[214:215], v[182:183], v[236:239]// 000000006ECC: D3D700EC 0FB36DD6
	v_mfma_i32_16x16x32_i8 v[236:239], a[216:217], v[184:185], v[236:239]// 000000006ED4: D3D700EC 0FB371D8
	v_mfma_i32_16x16x32_i8 v[236:239], a[218:219], v[186:187], v[236:239]// 000000006EDC: D3D700EC 0FB375DA
	buffer_load_dwordx4 a[92:95], v43, s[12:15], 0 offen offset:3072// 000000006EE4: E05C1C00 80835C2B
	v_mfma_i32_16x16x32_i8 v[236:239], a[220:221], v[188:189], v[236:239]// 000000006EEC: D3D700EC 0FB379DC
	v_mfma_i32_16x16x32_i8 v[236:239], a[222:223], v[190:191], v[236:239]// 000000006EF4: D3D700EC 0FB37DDE
	s_waitcnt vmcnt(24)                                        // 000000006EFC: BF8C4F78
	v_mfma_i32_16x16x32_i8 v[240:243], a[224:225], v[144:145], v[240:243]// 000000006F00: D3D700F0 0FC321E0
	v_mfma_i32_16x16x32_i8 v[240:243], a[226:227], v[146:147], v[240:243]// 000000006F08: D3D700F0 0FC325E2
	buffer_load_dwordx4 a[96:99], v44, s[12:15], 0 offen       // 000000006F10: E05C1000 8083602C
	v_mfma_i32_16x16x32_i8 v[240:243], a[228:229], v[148:149], v[240:243]// 000000006F18: D3D700F0 0FC329E4
	v_mfma_i32_16x16x32_i8 v[240:243], a[230:231], v[150:151], v[240:243]// 000000006F20: D3D700F0 0FC32DE6
	buffer_load_dword v12, v5, s[16:19], 0 offen               // 000000006F28: E0501000 80040C05
	v_mfma_i32_16x16x32_i8 v[240:243], a[232:233], v[152:153], v[240:243]// 000000006F30: D3D700F0 0FC331E8
	v_mfma_i32_16x16x32_i8 v[240:243], a[234:235], v[154:155], v[240:243]// 000000006F38: D3D700F0 0FC335EA
	buffer_load_dwordx4 a[100:103], v44, s[12:15], 0 offen offset:1024// 000000006F40: E05C1400 8083642C
	v_mfma_i32_16x16x32_i8 v[240:243], a[236:237], v[156:157], v[240:243]// 000000006F48: D3D700F0 0FC339EC
	v_mfma_i32_16x16x32_i8 v[240:243], a[238:239], v[158:159], v[240:243]// 000000006F50: D3D700F0 0FC33DEE
	v_mfma_i32_16x16x32_i8 v[244:247], a[224:225], v[176:177], v[244:247]// 000000006F58: D3D700F4 0FD361E0
	v_mfma_i32_16x16x32_i8 v[244:247], a[226:227], v[178:179], v[244:247]// 000000006F60: D3D700F4 0FD365E2
	buffer_load_dwordx4 a[104:107], v44, s[12:15], 0 offen offset:2048// 000000006F68: E05C1800 8083682C
	v_mfma_i32_16x16x32_i8 v[244:247], a[228:229], v[180:181], v[244:247]// 000000006F70: D3D700F4 0FD369E4
	s_add_u32 s60, 0x200, s80                                  // 000000006F78: 803C50FF 00000200
	s_cmp_lt_u32 s60, s81                                      // 000000006F80: BF0A513C
	v_mfma_i32_16x16x32_i8 v[244:247], a[230:231], v[182:183], v[244:247]// 000000006F84: D3D700F4 0FD36DE6
	s_cselect_b32 s56, s56, 0                                  // 000000006F8C: 85388038
	s_cselect_b32 s78, s78, 0                                  // 000000006F90: 854E804E
	s_cselect_b32 s79, s79, 0                                  // 000000006F94: 854F804F
	v_mfma_i32_16x16x32_i8 v[244:247], a[232:233], v[184:185], v[244:247]// 000000006F98: D3D700F4 0FD371E8
	v_mfma_i32_16x16x32_i8 v[244:247], a[234:235], v[186:187], v[244:247]// 000000006FA0: D3D700F4 0FD375EA
	buffer_load_dwordx4 a[108:111], v44, s[12:15], 0 offen offset:3072// 000000006FA8: E05C1C00 80836C2C
	v_mfma_i32_16x16x32_i8 v[244:247], a[236:237], v[188:189], v[244:247]// 000000006FB0: D3D700F4 0FD379EC
	s_add_u32 s16, s79, s16                                    // 000000006FB8: 8010104F
	s_addc_u32 s17, 0, s17                                     // 000000006FBC: 82111180
	v_mfma_i32_16x16x32_i8 v[244:247], a[238:239], v[190:191], v[244:247]// 000000006FC0: D3D700F4 0FD37DEE
	v_mfma_i32_16x16x32_i8 v[248:251], a[240:241], v[144:145], v[248:251]// 000000006FC8: D3D700F8 0FE321F0
	v_mfma_i32_16x16x32_i8 v[248:251], a[242:243], v[146:147], v[248:251]// 000000006FD0: D3D700F8 0FE325F2
	buffer_load_dwordx4 a[112:115], v45, s[12:15], 0 offen     // 000000006FD8: E05C1000 8083702D
	v_mfma_i32_16x16x32_i8 v[248:251], a[244:245], v[148:149], v[248:251]// 000000006FE0: D3D700F8 0FE329F4
	v_mfma_i32_16x16x32_i8 v[248:251], a[246:247], v[150:151], v[248:251]// 000000006FE8: D3D700F8 0FE32DF6
	v_mfma_i32_16x16x32_i8 v[248:251], a[248:249], v[152:153], v[248:251]// 000000006FF0: D3D700F8 0FE331F8
	v_mfma_i32_16x16x32_i8 v[248:251], a[250:251], v[154:155], v[248:251]// 000000006FF8: D3D700F8 0FE335FA
	buffer_load_dwordx4 a[116:119], v45, s[12:15], 0 offen offset:1024// 000000007000: E05C1400 8083742D
	v_mfma_i32_16x16x32_i8 v[248:251], a[252:253], v[156:157], v[248:251]// 000000007008: D3D700F8 0FE339FC
	v_mfma_i32_16x16x32_i8 v[248:251], a[254:255], v[158:159], v[248:251]// 000000007010: D3D700F8 0FE33DFE
	v_mfma_i32_16x16x32_i8 v[252:255], a[240:241], v[176:177], v[252:255]// 000000007018: D3D700FC 0FF361F0
	v_mfma_i32_16x16x32_i8 v[252:255], a[242:243], v[178:179], v[252:255]// 000000007020: D3D700FC 0FF365F2
	buffer_load_dwordx4 a[120:123], v45, s[12:15], 0 offen offset:2048// 000000007028: E05C1800 8083782D
	v_mfma_i32_16x16x32_i8 v[252:255], a[244:245], v[180:181], v[252:255]// 000000007030: D3D700FC 0FF369F4
	v_mfma_i32_16x16x32_i8 v[252:255], a[246:247], v[182:183], v[252:255]// 000000007038: D3D700FC 0FF36DF6
	v_mfma_i32_16x16x32_i8 v[252:255], a[248:249], v[184:185], v[252:255]// 000000007040: D3D700FC 0FF371F8
	v_mfma_i32_16x16x32_i8 v[252:255], a[250:251], v[186:187], v[252:255]// 000000007048: D3D700FC 0FF375FA
	buffer_load_dwordx4 a[124:127], v45, s[12:15], 0 offen offset:3072// 000000007050: E05C1C00 80837C2D
	v_mfma_i32_16x16x32_i8 v[252:255], a[252:253], v[188:189], v[252:255]// 000000007058: D3D700FC 0FF379FC
	s_add_u32 s12, s56, s12                                    // 000000007060: 800C0C38
	s_addc_u32 s13, 0, s13                                     // 000000007064: 820D0D80
	v_mfma_i32_16x16x32_i8 v[252:255], a[254:255], v[190:191], v[252:255]// 000000007068: D3D700FC 0FF37DFE
	v_mov_b32_e32 v96, v24                                     // 000000007070: 7EC00318
	v_mov_b32_e32 v100, v20                                    // 000000007074: 7EC80314
	v_mov_b32_e32 v97, v24                                     // 000000007078: 7EC20318
	v_mov_b32_e32 v101, v20                                    // 00000000707C: 7ECA0314
	v_mov_b32_e32 v98, v25                                     // 000000007080: 7EC40319
	v_mov_b32_e32 v102, v21                                    // 000000007084: 7ECC0315
	v_mov_b32_e32 v99, v25                                     // 000000007088: 7EC60319
	v_mov_b32_e32 v103, v21                                    // 00000000708C: 7ECE0315
	v_cvt_f32_i32_e32 v224, v224                               // 000000007090: 7FC00BE0
	v_cvt_f32_i32_e32 v225, v225                               // 000000007094: 7FC20BE1
	v_cvt_f32_i32_e32 v226, v226                               // 000000007098: 7FC40BE2
	v_cvt_f32_i32_e32 v227, v227                               // 00000000709C: 7FC60BE3
	v_pk_mul_f32 v[224:225], v[96:97], v[224:225]              // 0000000070A0: D3B140E0 1803C160
	v_pk_mul_f32 v[226:227], v[96:97], v[226:227]              // 0000000070A8: D3B140E2 1803C560
	v_mul_f32_dpp v224, v13, v224 row_newbcast:0 row_mask:0xf bank_mask:0xf// 0000000070B0: 0BC1C0FA FF01500D
	v_mul_f32_dpp v225, v13, v225 row_newbcast:1 row_mask:0xf bank_mask:0xf// 0000000070B8: 0BC3C2FA FF01510D
	v_mul_f32_dpp v226, v13, v226 row_newbcast:2 row_mask:0xf bank_mask:0xf// 0000000070C0: 0BC5C4FA FF01520D
	v_mul_f32_dpp v227, v13, v227 row_newbcast:3 row_mask:0xf bank_mask:0xf// 0000000070C8: 0BC7C6FA FF01530D
	v_pk_mul_f32 v[224:225], v[100:101], v[224:225]            // 0000000070D0: D3B140E0 1803C164
	v_pk_mul_f32 v[226:227], v[100:101], v[226:227]            // 0000000070D8: D3B140E2 1803C564
	v_cvt_f32_i32_e32 v228, v228                               // 0000000070E0: 7FC80BE4
	v_cvt_f32_i32_e32 v229, v229                               // 0000000070E4: 7FCA0BE5
	v_cvt_f32_i32_e32 v230, v230                               // 0000000070E8: 7FCC0BE6
	v_cvt_f32_i32_e32 v231, v231                               // 0000000070EC: 7FCE0BE7
	v_pk_mul_f32 v[228:229], v[98:99], v[228:229]              // 0000000070F0: D3B140E4 1803C962
	v_pk_mul_f32 v[230:231], v[98:99], v[230:231]              // 0000000070F8: D3B140E6 1803CD62
	v_mul_f32_dpp v228, v13, v228 row_newbcast:0 row_mask:0xf bank_mask:0xf// 000000007100: 0BC9C8FA FF01500D
	v_mul_f32_dpp v229, v13, v229 row_newbcast:1 row_mask:0xf bank_mask:0xf// 000000007108: 0BCBCAFA FF01510D
	v_mul_f32_dpp v230, v13, v230 row_newbcast:2 row_mask:0xf bank_mask:0xf// 000000007110: 0BCDCCFA FF01520D
	v_mul_f32_dpp v231, v13, v231 row_newbcast:3 row_mask:0xf bank_mask:0xf// 000000007118: 0BCFCEFA FF01530D
	v_pk_mul_f32 v[228:229], v[102:103], v[228:229]            // 000000007120: D3B140E4 1803C966
	v_pk_mul_f32 v[230:231], v[102:103], v[230:231]            // 000000007128: D3B140E6 1803CD66
	v_cvt_f32_i32_e32 v232, v232                               // 000000007130: 7FD00BE8
	v_cvt_f32_i32_e32 v233, v233                               // 000000007134: 7FD20BE9
	v_cvt_f32_i32_e32 v234, v234                               // 000000007138: 7FD40BEA
	v_cvt_f32_i32_e32 v235, v235                               // 00000000713C: 7FD60BEB
	v_pk_mul_f32 v[232:233], v[96:97], v[232:233]              // 000000007140: D3B140E8 1803D160
	v_pk_mul_f32 v[234:235], v[96:97], v[234:235]              // 000000007148: D3B140EA 1803D560
	v_mul_f32_dpp v232, v13, v232 row_newbcast:4 row_mask:0xf bank_mask:0xf// 000000007150: 0BD1D0FA FF01540D
	v_mul_f32_dpp v233, v13, v233 row_newbcast:5 row_mask:0xf bank_mask:0xf// 000000007158: 0BD3D2FA FF01550D
	v_mul_f32_dpp v234, v13, v234 row_newbcast:6 row_mask:0xf bank_mask:0xf// 000000007160: 0BD5D4FA FF01560D
	v_mul_f32_dpp v235, v13, v235 row_newbcast:7 row_mask:0xf bank_mask:0xf// 000000007168: 0BD7D6FA FF01570D
	v_pk_mul_f32 v[232:233], v[100:101], v[232:233]            // 000000007170: D3B140E8 1803D164
	v_pk_mul_f32 v[234:235], v[100:101], v[234:235]            // 000000007178: D3B140EA 1803D564
	v_cvt_f32_i32_e32 v236, v236                               // 000000007180: 7FD80BEC
	v_cvt_f32_i32_e32 v237, v237                               // 000000007184: 7FDA0BED
	v_cvt_f32_i32_e32 v238, v238                               // 000000007188: 7FDC0BEE
	v_cvt_f32_i32_e32 v239, v239                               // 00000000718C: 7FDE0BEF
	v_pk_mul_f32 v[236:237], v[98:99], v[236:237]              // 000000007190: D3B140EC 1803D962
	v_pk_mul_f32 v[238:239], v[98:99], v[238:239]              // 000000007198: D3B140EE 1803DD62
	v_mul_f32_dpp v236, v13, v236 row_newbcast:4 row_mask:0xf bank_mask:0xf// 0000000071A0: 0BD9D8FA FF01540D
	v_mul_f32_dpp v237, v13, v237 row_newbcast:5 row_mask:0xf bank_mask:0xf// 0000000071A8: 0BDBDAFA FF01550D
	v_mul_f32_dpp v238, v13, v238 row_newbcast:6 row_mask:0xf bank_mask:0xf// 0000000071B0: 0BDDDCFA FF01560D
	v_mul_f32_dpp v239, v13, v239 row_newbcast:7 row_mask:0xf bank_mask:0xf// 0000000071B8: 0BDFDEFA FF01570D
	v_pk_mul_f32 v[236:237], v[102:103], v[236:237]            // 0000000071C0: D3B140EC 1803D966
	v_pk_mul_f32 v[238:239], v[102:103], v[238:239]            // 0000000071C8: D3B140EE 1803DD66
	v_cvt_f32_i32_e32 v240, v240                               // 0000000071D0: 7FE00BF0
	v_cvt_f32_i32_e32 v241, v241                               // 0000000071D4: 7FE20BF1
	v_cvt_f32_i32_e32 v242, v242                               // 0000000071D8: 7FE40BF2
	v_cvt_f32_i32_e32 v243, v243                               // 0000000071DC: 7FE60BF3
	v_pk_mul_f32 v[240:241], v[96:97], v[240:241]              // 0000000071E0: D3B140F0 1803E160
	v_pk_mul_f32 v[242:243], v[96:97], v[242:243]              // 0000000071E8: D3B140F2 1803E560
	v_mul_f32_dpp v240, v13, v240 row_newbcast:8 row_mask:0xf bank_mask:0xf// 0000000071F0: 0BE1E0FA FF01580D
	v_mul_f32_dpp v241, v13, v241 row_newbcast:9 row_mask:0xf bank_mask:0xf// 0000000071F8: 0BE3E2FA FF01590D
	v_mul_f32_dpp v242, v13, v242 row_newbcast:10 row_mask:0xf bank_mask:0xf// 000000007200: 0BE5E4FA FF015A0D
	v_mul_f32_dpp v243, v13, v243 row_newbcast:11 row_mask:0xf bank_mask:0xf// 000000007208: 0BE7E6FA FF015B0D
	v_pk_mul_f32 v[240:241], v[100:101], v[240:241]            // 000000007210: D3B140F0 1803E164
	v_pk_mul_f32 v[242:243], v[100:101], v[242:243]            // 000000007218: D3B140F2 1803E564
	v_cvt_f32_i32_e32 v244, v244                               // 000000007220: 7FE80BF4
	v_cvt_f32_i32_e32 v245, v245                               // 000000007224: 7FEA0BF5
	v_cvt_f32_i32_e32 v246, v246                               // 000000007228: 7FEC0BF6
	v_cvt_f32_i32_e32 v247, v247                               // 00000000722C: 7FEE0BF7
	v_pk_mul_f32 v[244:245], v[98:99], v[244:245]              // 000000007230: D3B140F4 1803E962
	v_pk_mul_f32 v[246:247], v[98:99], v[246:247]              // 000000007238: D3B140F6 1803ED62
	v_mul_f32_dpp v244, v13, v244 row_newbcast:8 row_mask:0xf bank_mask:0xf// 000000007240: 0BE9E8FA FF01580D
	v_mul_f32_dpp v245, v13, v245 row_newbcast:9 row_mask:0xf bank_mask:0xf// 000000007248: 0BEBEAFA FF01590D
	v_mul_f32_dpp v246, v13, v246 row_newbcast:10 row_mask:0xf bank_mask:0xf// 000000007250: 0BEDECFA FF015A0D
	v_mul_f32_dpp v247, v13, v247 row_newbcast:11 row_mask:0xf bank_mask:0xf// 000000007258: 0BEFEEFA FF015B0D
	v_pk_mul_f32 v[244:245], v[102:103], v[244:245]            // 000000007260: D3B140F4 1803E966
	v_pk_mul_f32 v[246:247], v[102:103], v[246:247]            // 000000007268: D3B140F6 1803ED66
	v_cvt_f32_i32_e32 v248, v248                               // 000000007270: 7FF00BF8
	v_cvt_f32_i32_e32 v249, v249                               // 000000007274: 7FF20BF9
	v_cvt_f32_i32_e32 v250, v250                               // 000000007278: 7FF40BFA
	v_cvt_f32_i32_e32 v251, v251                               // 00000000727C: 7FF60BFB
	v_pk_mul_f32 v[248:249], v[96:97], v[248:249]              // 000000007280: D3B140F8 1803F160
	v_pk_mul_f32 v[250:251], v[96:97], v[250:251]              // 000000007288: D3B140FA 1803F560
	v_mul_f32_dpp v248, v13, v248 row_newbcast:12 row_mask:0xf bank_mask:0xf// 000000007290: 0BF1F0FA FF015C0D
	v_mul_f32_dpp v249, v13, v249 row_newbcast:13 row_mask:0xf bank_mask:0xf// 000000007298: 0BF3F2FA FF015D0D
	v_mul_f32_dpp v250, v13, v250 row_newbcast:14 row_mask:0xf bank_mask:0xf// 0000000072A0: 0BF5F4FA FF015E0D
	v_mul_f32_dpp v251, v13, v251 row_newbcast:15 row_mask:0xf bank_mask:0xf// 0000000072A8: 0BF7F6FA FF015F0D
	v_pk_mul_f32 v[248:249], v[100:101], v[248:249]            // 0000000072B0: D3B140F8 1803F164
	v_pk_mul_f32 v[250:251], v[100:101], v[250:251]            // 0000000072B8: D3B140FA 1803F564
	v_cvt_f32_i32_e32 v252, v252                               // 0000000072C0: 7FF80BFC
	v_cvt_f32_i32_e32 v253, v253                               // 0000000072C4: 7FFA0BFD
	v_cvt_f32_i32_e32 v254, v254                               // 0000000072C8: 7FFC0BFE
	v_cvt_f32_i32_e32 v255, v255                               // 0000000072CC: 7FFE0BFF
	v_pk_mul_f32 v[252:253], v[98:99], v[252:253]              // 0000000072D0: D3B140FC 1803F962
	v_pk_mul_f32 v[254:255], v[98:99], v[254:255]              // 0000000072D8: D3B140FE 1803FD62
	v_mul_f32_dpp v252, v13, v252 row_newbcast:12 row_mask:0xf bank_mask:0xf// 0000000072E0: 0BF9F8FA FF015C0D
	v_mul_f32_dpp v253, v13, v253 row_newbcast:13 row_mask:0xf bank_mask:0xf// 0000000072E8: 0BFBFAFA FF015D0D
	v_mul_f32_dpp v254, v13, v254 row_newbcast:14 row_mask:0xf bank_mask:0xf// 0000000072F0: 0BFDFCFA FF015E0D
	v_mul_f32_dpp v255, v13, v255 row_newbcast:15 row_mask:0xf bank_mask:0xf// 0000000072F8: 0BFFFEFA FF015F0D
	v_pk_mul_f32 v[252:253], v[102:103], v[252:253]            // 000000007300: D3B140FC 1803F966
	v_pk_mul_f32 v[254:255], v[102:103], v[254:255]            // 000000007308: D3B140FE 1803FD66
	v_cmp_u_f32_e64 s[48:49], v224, v224                       // 000000007310: D0480030 0003C1E0
	v_add3_u32 v50, v224, v53, 1                               // 000000007318: D1FF0032 02066BE0
	v_cndmask_b32_e64 v54, v50, v52, s[48:49]                  // 000000007320: D1000036 00C26932
	v_cmp_u_f32_e64 s[48:49], v225, v225                       // 000000007328: D0480030 0003C3E1
	v_add3_u32 v50, v225, v53, 1                               // 000000007330: D1FF0032 02066BE1
	v_cndmask_b32_e64 v55, v50, v52, s[48:49]                  // 000000007338: D1000037 00C26932
	v_perm_b32 v224, v55, v54, s52                             // 000000007340: D1ED00E0 00D26D37
	v_cmp_u_f32_e64 s[48:49], v226, v226                       // 000000007348: D0480030 0003C5E2
	v_add3_u32 v50, v226, v53, 1                               // 000000007350: D1FF0032 02066BE2
	v_cndmask_b32_e64 v54, v50, v52, s[48:49]                  // 000000007358: D1000036 00C26932
	v_cmp_u_f32_e64 s[48:49], v227, v227                       // 000000007360: D0480030 0003C7E3
	v_add3_u32 v50, v227, v53, 1                               // 000000007368: D1FF0032 02066BE3
	v_cndmask_b32_e64 v55, v50, v52, s[48:49]                  // 000000007370: D1000037 00C26932
	v_perm_b32 v225, v55, v54, s52                             // 000000007378: D1ED00E1 00D26D37
	v_cmp_u_f32_e64 s[48:49], v228, v228                       // 000000007380: D0480030 0003C9E4
	v_add3_u32 v50, v228, v53, 1                               // 000000007388: D1FF0032 02066BE4
	v_cndmask_b32_e64 v54, v50, v52, s[48:49]                  // 000000007390: D1000036 00C26932
	v_cmp_u_f32_e64 s[48:49], v229, v229                       // 000000007398: D0480030 0003CBE5
	v_add3_u32 v50, v229, v53, 1                               // 0000000073A0: D1FF0032 02066BE5
	v_cndmask_b32_e64 v55, v50, v52, s[48:49]                  // 0000000073A8: D1000037 00C26932
	v_perm_b32 v226, v55, v54, s52                             // 0000000073B0: D1ED00E2 00D26D37
	v_cmp_u_f32_e64 s[48:49], v230, v230                       // 0000000073B8: D0480030 0003CDE6
	v_add3_u32 v50, v230, v53, 1                               // 0000000073C0: D1FF0032 02066BE6
	v_cndmask_b32_e64 v54, v50, v52, s[48:49]                  // 0000000073C8: D1000036 00C26932
	v_cmp_u_f32_e64 s[48:49], v231, v231                       // 0000000073D0: D0480030 0003CFE7
	v_add3_u32 v50, v231, v53, 1                               // 0000000073D8: D1FF0032 02066BE7
	v_cndmask_b32_e64 v55, v50, v52, s[48:49]                  // 0000000073E0: D1000037 00C26932
	v_perm_b32 v227, v55, v54, s52                             // 0000000073E8: D1ED00E3 00D26D37
	v_cmp_u_f32_e64 s[48:49], v232, v232                       // 0000000073F0: D0480030 0003D1E8
	v_add3_u32 v50, v232, v53, 1                               // 0000000073F8: D1FF0032 02066BE8
	v_cndmask_b32_e64 v54, v50, v52, s[48:49]                  // 000000007400: D1000036 00C26932
	v_cmp_u_f32_e64 s[48:49], v233, v233                       // 000000007408: D0480030 0003D3E9
	v_add3_u32 v50, v233, v53, 1                               // 000000007410: D1FF0032 02066BE9
	v_cndmask_b32_e64 v55, v50, v52, s[48:49]                  // 000000007418: D1000037 00C26932
	v_perm_b32 v228, v55, v54, s52                             // 000000007420: D1ED00E4 00D26D37
	v_cmp_u_f32_e64 s[48:49], v234, v234                       // 000000007428: D0480030 0003D5EA
	v_add3_u32 v50, v234, v53, 1                               // 000000007430: D1FF0032 02066BEA
	v_cndmask_b32_e64 v54, v50, v52, s[48:49]                  // 000000007438: D1000036 00C26932
	v_cmp_u_f32_e64 s[48:49], v235, v235                       // 000000007440: D0480030 0003D7EB
	v_add3_u32 v50, v235, v53, 1                               // 000000007448: D1FF0032 02066BEB
	v_cndmask_b32_e64 v55, v50, v52, s[48:49]                  // 000000007450: D1000037 00C26932
	v_perm_b32 v229, v55, v54, s52                             // 000000007458: D1ED00E5 00D26D37
	v_cmp_u_f32_e64 s[48:49], v236, v236                       // 000000007460: D0480030 0003D9EC
	v_add3_u32 v50, v236, v53, 1                               // 000000007468: D1FF0032 02066BEC
	v_cndmask_b32_e64 v54, v50, v52, s[48:49]                  // 000000007470: D1000036 00C26932
	v_cmp_u_f32_e64 s[48:49], v237, v237                       // 000000007478: D0480030 0003DBED
	v_add3_u32 v50, v237, v53, 1                               // 000000007480: D1FF0032 02066BED
	v_cndmask_b32_e64 v55, v50, v52, s[48:49]                  // 000000007488: D1000037 00C26932
	v_perm_b32 v230, v55, v54, s52                             // 000000007490: D1ED00E6 00D26D37
	v_cmp_u_f32_e64 s[48:49], v238, v238                       // 000000007498: D0480030 0003DDEE
	v_add3_u32 v50, v238, v53, 1                               // 0000000074A0: D1FF0032 02066BEE
	v_cndmask_b32_e64 v54, v50, v52, s[48:49]                  // 0000000074A8: D1000036 00C26932
	v_cmp_u_f32_e64 s[48:49], v239, v239                       // 0000000074B0: D0480030 0003DFEF
	v_add3_u32 v50, v239, v53, 1                               // 0000000074B8: D1FF0032 02066BEF
	v_cndmask_b32_e64 v55, v50, v52, s[48:49]                  // 0000000074C0: D1000037 00C26932
	v_perm_b32 v231, v55, v54, s52                             // 0000000074C8: D1ED00E7 00D26D37
	v_cmp_u_f32_e64 s[48:49], v240, v240                       // 0000000074D0: D0480030 0003E1F0
	v_add3_u32 v50, v240, v53, 1                               // 0000000074D8: D1FF0032 02066BF0
	v_cndmask_b32_e64 v54, v50, v52, s[48:49]                  // 0000000074E0: D1000036 00C26932
	v_cmp_u_f32_e64 s[48:49], v241, v241                       // 0000000074E8: D0480030 0003E3F1
	v_add3_u32 v50, v241, v53, 1                               // 0000000074F0: D1FF0032 02066BF1
	v_cndmask_b32_e64 v55, v50, v52, s[48:49]                  // 0000000074F8: D1000037 00C26932
	v_perm_b32 v232, v55, v54, s52                             // 000000007500: D1ED00E8 00D26D37
	v_cmp_u_f32_e64 s[48:49], v242, v242                       // 000000007508: D0480030 0003E5F2
	v_add3_u32 v50, v242, v53, 1                               // 000000007510: D1FF0032 02066BF2
	v_cndmask_b32_e64 v54, v50, v52, s[48:49]                  // 000000007518: D1000036 00C26932
	v_cmp_u_f32_e64 s[48:49], v243, v243                       // 000000007520: D0480030 0003E7F3
	v_add3_u32 v50, v243, v53, 1                               // 000000007528: D1FF0032 02066BF3
	v_cndmask_b32_e64 v55, v50, v52, s[48:49]                  // 000000007530: D1000037 00C26932
	v_perm_b32 v233, v55, v54, s52                             // 000000007538: D1ED00E9 00D26D37
	v_cmp_u_f32_e64 s[48:49], v244, v244                       // 000000007540: D0480030 0003E9F4
	v_add3_u32 v50, v244, v53, 1                               // 000000007548: D1FF0032 02066BF4
	v_cndmask_b32_e64 v54, v50, v52, s[48:49]                  // 000000007550: D1000036 00C26932
	v_cmp_u_f32_e64 s[48:49], v245, v245                       // 000000007558: D0480030 0003EBF5
	v_add3_u32 v50, v245, v53, 1                               // 000000007560: D1FF0032 02066BF5
	v_cndmask_b32_e64 v55, v50, v52, s[48:49]                  // 000000007568: D1000037 00C26932
	v_perm_b32 v234, v55, v54, s52                             // 000000007570: D1ED00EA 00D26D37
	v_cmp_u_f32_e64 s[48:49], v246, v246                       // 000000007578: D0480030 0003EDF6
	v_add3_u32 v50, v246, v53, 1                               // 000000007580: D1FF0032 02066BF6
	v_cndmask_b32_e64 v54, v50, v52, s[48:49]                  // 000000007588: D1000036 00C26932
	v_cmp_u_f32_e64 s[48:49], v247, v247                       // 000000007590: D0480030 0003EFF7
	v_add3_u32 v50, v247, v53, 1                               // 000000007598: D1FF0032 02066BF7
	v_cndmask_b32_e64 v55, v50, v52, s[48:49]                  // 0000000075A0: D1000037 00C26932
	v_perm_b32 v235, v55, v54, s52                             // 0000000075A8: D1ED00EB 00D26D37
	v_cmp_u_f32_e64 s[48:49], v248, v248                       // 0000000075B0: D0480030 0003F1F8
	v_add3_u32 v50, v248, v53, 1                               // 0000000075B8: D1FF0032 02066BF8
	v_cndmask_b32_e64 v54, v50, v52, s[48:49]                  // 0000000075C0: D1000036 00C26932
	v_cmp_u_f32_e64 s[48:49], v249, v249                       // 0000000075C8: D0480030 0003F3F9
	v_add3_u32 v50, v249, v53, 1                               // 0000000075D0: D1FF0032 02066BF9
	v_cndmask_b32_e64 v55, v50, v52, s[48:49]                  // 0000000075D8: D1000037 00C26932
	v_perm_b32 v236, v55, v54, s52                             // 0000000075E0: D1ED00EC 00D26D37
	v_cmp_u_f32_e64 s[48:49], v250, v250                       // 0000000075E8: D0480030 0003F5FA
	v_add3_u32 v50, v250, v53, 1                               // 0000000075F0: D1FF0032 02066BFA
	v_cndmask_b32_e64 v54, v50, v52, s[48:49]                  // 0000000075F8: D1000036 00C26932
	v_cmp_u_f32_e64 s[48:49], v251, v251                       // 000000007600: D0480030 0003F7FB
	v_add3_u32 v50, v251, v53, 1                               // 000000007608: D1FF0032 02066BFB
	v_cndmask_b32_e64 v55, v50, v52, s[48:49]                  // 000000007610: D1000037 00C26932
	v_perm_b32 v237, v55, v54, s52                             // 000000007618: D1ED00ED 00D26D37
	v_cmp_u_f32_e64 s[48:49], v252, v252                       // 000000007620: D0480030 0003F9FC
	v_add3_u32 v50, v252, v53, 1                               // 000000007628: D1FF0032 02066BFC
	v_cndmask_b32_e64 v54, v50, v52, s[48:49]                  // 000000007630: D1000036 00C26932
	v_cmp_u_f32_e64 s[48:49], v253, v253                       // 000000007638: D0480030 0003FBFD
	v_add3_u32 v50, v253, v53, 1                               // 000000007640: D1FF0032 02066BFD
	v_cndmask_b32_e64 v55, v50, v52, s[48:49]                  // 000000007648: D1000037 00C26932
	v_perm_b32 v238, v55, v54, s52                             // 000000007650: D1ED00EE 00D26D37
	v_cmp_u_f32_e64 s[48:49], v254, v254                       // 000000007658: D0480030 0003FDFE
	v_add3_u32 v50, v254, v53, 1                               // 000000007660: D1FF0032 02066BFE
	v_cndmask_b32_e64 v54, v50, v52, s[48:49]                  // 000000007668: D1000036 00C26932
	v_cmp_u_f32_e64 s[48:49], v255, v255                       // 000000007670: D0480030 0003FFFF
	v_add3_u32 v50, v255, v53, 1                               // 000000007678: D1FF0032 02066BFF
	v_cndmask_b32_e64 v55, v50, v52, s[48:49]                  // 000000007680: D1000037 00C26932
	v_perm_b32 v239, v55, v54, s52                             // 000000007688: D1ED00EF 00D26D37
	s_setvskip s20, 0                                          // 000000007690: BF108014
	global_atomic_pk_add_bf16 v80, v64, s[8:9]                 // 000000007694: DD488000 00084050
	s_setvskip 0, 0                                            // 00000000769C: BF108080
	s_setvskip s20, 0                                          // 0000000076A0: BF108014
	global_atomic_pk_add_bf16 v80, v65, s[8:9] offset:256      // 0000000076A4: DD488100 00084150
	s_setvskip 0, 0                                            // 0000000076AC: BF108080
	s_setvskip s20, 1                                          // 0000000076B0: BF108114
	global_atomic_pk_add_bf16 v82, v66, s[8:9]                 // 0000000076B4: DD488000 00084252
	s_setvskip 0, 0                                            // 0000000076BC: BF108080
	s_setvskip s20, 1                                          // 0000000076C0: BF108114
	global_atomic_pk_add_bf16 v82, v67, s[8:9] offset:256      // 0000000076C4: DD488100 00084352
	s_setvskip 0, 0                                            // 0000000076CC: BF108080
	s_setvskip s20, 2                                          // 0000000076D0: BF108214
	global_atomic_pk_add_bf16 v84, v68, s[8:9]                 // 0000000076D4: DD488000 00084454
	s_setvskip 0, 0                                            // 0000000076DC: BF108080
	s_setvskip s20, 2                                          // 0000000076E0: BF108214
	global_atomic_pk_add_bf16 v84, v69, s[8:9] offset:256      // 0000000076E4: DD488100 00084554
	s_setvskip 0, 0                                            // 0000000076EC: BF108080
	s_setvskip s20, 3                                          // 0000000076F0: BF108314
	global_atomic_pk_add_bf16 v86, v70, s[8:9]                 // 0000000076F4: DD488000 00084656
	s_setvskip 0, 0                                            // 0000000076FC: BF108080
	s_setvskip s20, 3                                          // 000000007700: BF108314
	global_atomic_pk_add_bf16 v86, v71, s[8:9] offset:256      // 000000007704: DD488100 00084756
	s_setvskip 0, 0                                            // 00000000770C: BF108080
	s_setvskip s20, 4                                          // 000000007710: BF108414
	global_atomic_pk_add_bf16 v88, v72, s[8:9]                 // 000000007714: DD488000 00084858
	s_setvskip 0, 0                                            // 00000000771C: BF108080
	s_setvskip s20, 4                                          // 000000007720: BF108414
	global_atomic_pk_add_bf16 v88, v73, s[8:9] offset:256      // 000000007724: DD488100 00084958
	s_setvskip 0, 0                                            // 00000000772C: BF108080
	s_setvskip s20, 5                                          // 000000007730: BF108514
	global_atomic_pk_add_bf16 v90, v74, s[8:9]                 // 000000007734: DD488000 00084A5A
	s_setvskip 0, 0                                            // 00000000773C: BF108080
	s_setvskip s20, 5                                          // 000000007740: BF108514
	global_atomic_pk_add_bf16 v90, v75, s[8:9] offset:256      // 000000007744: DD488100 00084B5A
	s_setvskip 0, 0                                            // 00000000774C: BF108080
	s_setvskip s20, 6                                          // 000000007750: BF108614
	global_atomic_pk_add_bf16 v92, v76, s[8:9]                 // 000000007754: DD488000 00084C5C
	s_setvskip 0, 0                                            // 00000000775C: BF108080
	s_setvskip s20, 6                                          // 000000007760: BF108614
	global_atomic_pk_add_bf16 v92, v77, s[8:9] offset:256      // 000000007764: DD488100 00084D5C
	s_setvskip 0, 0                                            // 00000000776C: BF108080
	s_setvskip s20, 7                                          // 000000007770: BF108714
	global_atomic_pk_add_bf16 v94, v78, s[8:9]                 // 000000007774: DD488000 00084E5E
	s_setvskip 0, 0                                            // 00000000777C: BF108080
	s_setvskip s20, 7                                          // 000000007780: BF108714
	global_atomic_pk_add_bf16 v94, v79, s[8:9] offset:256      // 000000007784: DD488100 00084F5E
	s_setvskip 0, 0                                            // 00000000778C: BF108080
	s_cmp_ge_u32 s80, 0x200                                    // 000000007790: BF09FF50 00000200
	s_cselect_b32 s59, 0x200, s59                              // 000000007798: 853B3BFF 00000200
	s_add_u32 s8, s59, s8                                      // 0000000077A0: 8008083B
	s_addc_u32 s9, 0, s9                                       // 0000000077A4: 82090980
	s_addk_i32 s80, 0x100                                      // 0000000077A8: B7500100
	s_cmp_lt_i32 s80, s81                                      // 0000000077AC: BF045150
	s_cbranch_scc0 label_126E                                  // 0000000077B0: BF840001
	s_branch label_0BC5                                        // 0000000077B4: BF82F957

00000000000077b8 <label_126E>:
	s_nop 0                                                    // 0000000077B8: BF800000
	s_nop 0                                                    // 0000000077BC: BF800000
	s_branch label_21E6                                        // 0000000077C0: BF820F75

00000000000077c4 <label_1271>:
	s_waitcnt vmcnt(24) lgkmcnt(0)                             // 0000000077C4: BF8C4078
	s_barrier                                                  // 0000000077C8: BF8A0000
	v_mfma_i32_16x16x32_i8 v[128:131], a[0:1], v[192:193], v[128:131]// 0000000077CC: D3D70080 0E038100
	buffer_load_dwordx4 a[128:131], v34, s[24:27], 0 offen     // 0000000077D4: E05C1000 80868022
	v_mfma_i32_16x16x32_i8 v[128:131], a[2:3], v[194:195], v[128:131]// 0000000077DC: D3D70080 0E038502
	v_mfma_i32_16x16x32_i8 v[128:131], a[4:5], v[196:197], v[128:131]// 0000000077E4: D3D70080 0E038904
	buffer_load_dword v26, s[20:23], 0 offen lds               // 0000000077EC: E0511000 8005001A
	s_add_u32 m0, 0x100, s50                                   // 0000000077F4: 807C32FF 00000100
	v_mfma_i32_16x16x32_i8 v[128:131], a[6:7], v[198:199], v[128:131]// 0000000077FC: D3D70080 0E038D06
	v_mfma_i32_16x16x32_i8 v[128:131], a[8:9], v[200:201], v[128:131]// 000000007804: D3D70080 0E039108
	buffer_load_dwordx4 a[132:135], v34, s[24:27], 0 offen offset:1024// 00000000780C: E05C1400 80868422
	v_mfma_i32_16x16x32_i8 v[128:131], a[10:11], v[202:203], v[128:131]// 000000007814: D3D70080 0E03950A
	v_mfma_i32_16x16x32_i8 v[128:131], a[12:13], v[204:205], v[128:131]// 00000000781C: D3D70080 0E03990C
	buffer_load_dword v27, s[20:23], 0 offen lds               // 000000007824: E0511000 8005001B
	s_add_u32 m0, 0x200, s50                                   // 00000000782C: 807C32FF 00000200
	v_mfma_i32_16x16x32_i8 v[128:131], a[14:15], v[206:207], v[128:131]// 000000007834: D3D70080 0E039D0E
	v_mfma_i32_16x16x32_i8 v[132:135], a[0:1], v[208:209], v[132:135]// 00000000783C: D3D70084 0E13A100
	buffer_load_dwordx4 a[136:139], v34, s[24:27], 0 offen offset:2048// 000000007844: E05C1800 80868822
	v_mfma_i32_16x16x32_i8 v[132:135], a[2:3], v[210:211], v[132:135]// 00000000784C: D3D70084 0E13A502
	v_mfma_i32_16x16x32_i8 v[132:135], a[4:5], v[212:213], v[132:135]// 000000007854: D3D70084 0E13A904
	buffer_load_dword v28, s[20:23], 0 offen lds               // 00000000785C: E0511000 8005001C
	s_add_u32 m0, 0x300, s50                                   // 000000007864: 807C32FF 00000300
	v_mfma_i32_16x16x32_i8 v[132:135], a[6:7], v[214:215], v[132:135]// 00000000786C: D3D70084 0E13AD06
	v_mfma_i32_16x16x32_i8 v[132:135], a[8:9], v[216:217], v[132:135]// 000000007874: D3D70084 0E13B108
	buffer_load_dwordx4 a[140:143], v34, s[24:27], 0 offen offset:3072// 00000000787C: E05C1C00 80868C22
	v_mfma_i32_16x16x32_i8 v[132:135], a[10:11], v[218:219], v[132:135]// 000000007884: D3D70084 0E13B50A
	v_mfma_i32_16x16x32_i8 v[132:135], a[12:13], v[220:221], v[132:135]// 00000000788C: D3D70084 0E13B90C
	buffer_load_dword v29, s[20:23], 0 offen lds               // 000000007894: E0511000 8005001D
	s_add_u32 m0, 0x400, s50                                   // 00000000789C: 807C32FF 00000400
	v_mfma_i32_16x16x32_i8 v[132:135], a[14:15], v[222:223], v[132:135]// 0000000078A4: D3D70084 0E13BD0E
	v_mfma_i32_16x16x32_i8 v[136:139], a[16:17], v[192:193], v[136:139]// 0000000078AC: D3D70088 0E238110
	buffer_load_dwordx4 a[144:147], v35, s[24:27], 0 offen     // 0000000078B4: E05C1000 80869023
	v_mfma_i32_16x16x32_i8 v[136:139], a[18:19], v[194:195], v[136:139]// 0000000078BC: D3D70088 0E238512
	v_mfma_i32_16x16x32_i8 v[136:139], a[20:21], v[196:197], v[136:139]// 0000000078C4: D3D70088 0E238914
	buffer_load_dword v30, s[20:23], 0 offen lds               // 0000000078CC: E0511000 8005001E
	s_add_u32 m0, 0x500, s50                                   // 0000000078D4: 807C32FF 00000500
	v_mfma_i32_16x16x32_i8 v[136:139], a[22:23], v[198:199], v[136:139]// 0000000078DC: D3D70088 0E238D16
	v_mfma_i32_16x16x32_i8 v[136:139], a[24:25], v[200:201], v[136:139]// 0000000078E4: D3D70088 0E239118
	buffer_load_dwordx4 a[148:151], v35, s[24:27], 0 offen offset:1024// 0000000078EC: E05C1400 80869423
	v_mfma_i32_16x16x32_i8 v[136:139], a[26:27], v[202:203], v[136:139]// 0000000078F4: D3D70088 0E23951A
	v_mfma_i32_16x16x32_i8 v[136:139], a[28:29], v[204:205], v[136:139]// 0000000078FC: D3D70088 0E23991C
	buffer_load_dword v31, s[20:23], 0 offen lds               // 000000007904: E0511000 8005001F
	s_add_u32 m0, 0x600, s50                                   // 00000000790C: 807C32FF 00000600
	v_mfma_i32_16x16x32_i8 v[136:139], a[30:31], v[206:207], v[136:139]// 000000007914: D3D70088 0E239D1E
	v_mfma_i32_16x16x32_i8 v[140:143], a[16:17], v[208:209], v[140:143]// 00000000791C: D3D7008C 0E33A110
	buffer_load_dwordx4 a[152:155], v35, s[24:27], 0 offen offset:2048// 000000007924: E05C1800 80869823
	v_mfma_i32_16x16x32_i8 v[140:143], a[18:19], v[210:211], v[140:143]// 00000000792C: D3D7008C 0E33A512
	v_mfma_i32_16x16x32_i8 v[140:143], a[20:21], v[212:213], v[140:143]// 000000007934: D3D7008C 0E33A914
	buffer_load_dword v32, s[20:23], 0 offen lds               // 00000000793C: E0511000 80050020
	s_add_u32 m0, 0x700, s50                                   // 000000007944: 807C32FF 00000700
	v_mfma_i32_16x16x32_i8 v[140:143], a[22:23], v[214:215], v[140:143]// 00000000794C: D3D7008C 0E33AD16
	v_mfma_i32_16x16x32_i8 v[140:143], a[24:25], v[216:217], v[140:143]// 000000007954: D3D7008C 0E33B118
	buffer_load_dwordx4 a[156:159], v35, s[24:27], 0 offen offset:3072// 00000000795C: E05C1C00 80869C23
	v_mfma_i32_16x16x32_i8 v[140:143], a[26:27], v[218:219], v[140:143]// 000000007964: D3D7008C 0E33B51A
	v_mfma_i32_16x16x32_i8 v[140:143], a[28:29], v[220:221], v[140:143]// 00000000796C: D3D7008C 0E33B91C
	buffer_load_dword v33, s[20:23], 0 offen lds               // 000000007974: E0511000 80050021
	s_add_u32 m0, 0, s51                                       // 00000000797C: 807C3380
	v_mfma_i32_16x16x32_i8 v[140:143], a[30:31], v[222:223], v[140:143]// 000000007980: D3D7008C 0E33BD1E
	s_waitcnt vmcnt(32)                                        // 000000007988: BF8C8F70
	v_mfma_i32_16x16x32_i8 v[144:147], a[32:33], v[192:193], v[144:147]// 00000000798C: D3D70090 0E438120
	buffer_load_dwordx4 a[160:163], v36, s[24:27], 0 offen     // 000000007994: E05C1000 8086A024
	v_mfma_i32_16x16x32_i8 v[144:147], a[34:35], v[194:195], v[144:147]// 00000000799C: D3D70090 0E438522
	v_mfma_i32_16x16x32_i8 v[144:147], a[36:37], v[196:197], v[144:147]// 0000000079A4: D3D70090 0E438924
	ds_read_b128 v[224:227], v2 offset:8320                    // 0000000079AC: D9FE2080 E0000002
	v_mfma_i32_16x16x32_i8 v[144:147], a[38:39], v[198:199], v[144:147]// 0000000079B4: D3D70090 0E438D26
	v_mfma_i32_16x16x32_i8 v[144:147], a[40:41], v[200:201], v[144:147]// 0000000079BC: D3D70090 0E439128
	buffer_load_dwordx4 a[164:167], v36, s[24:27], 0 offen offset:1024// 0000000079C4: E05C1400 8086A424
	v_mfma_i32_16x16x32_i8 v[144:147], a[42:43], v[202:203], v[144:147]// 0000000079CC: D3D70090 0E43952A
	v_mfma_i32_16x16x32_i8 v[144:147], a[44:45], v[204:205], v[144:147]// 0000000079D4: D3D70090 0E43992C
	ds_read_b128 v[228:231], v2 offset:8384                    // 0000000079DC: D9FE20C0 E4000002
	v_mfma_i32_16x16x32_i8 v[144:147], a[46:47], v[206:207], v[144:147]// 0000000079E4: D3D70090 0E439D2E
	v_mfma_i32_16x16x32_i8 v[148:151], a[32:33], v[208:209], v[148:151]// 0000000079EC: D3D70094 0E53A120
	buffer_load_dwordx4 a[168:171], v36, s[24:27], 0 offen offset:2048// 0000000079F4: E05C1800 8086A824
	v_mfma_i32_16x16x32_i8 v[148:151], a[34:35], v[210:211], v[148:151]// 0000000079FC: D3D70094 0E53A522
	v_mfma_i32_16x16x32_i8 v[148:151], a[36:37], v[212:213], v[148:151]// 000000007A04: D3D70094 0E53A924
	ds_read_b128 v[232:235], v2 offset:8448                    // 000000007A0C: D9FE2100 E8000002
	v_mfma_i32_16x16x32_i8 v[148:151], a[38:39], v[214:215], v[148:151]// 000000007A14: D3D70094 0E53AD26
	v_mfma_i32_16x16x32_i8 v[148:151], a[40:41], v[216:217], v[148:151]// 000000007A1C: D3D70094 0E53B128
	buffer_load_dwordx4 a[172:175], v36, s[24:27], 0 offen offset:3072// 000000007A24: E05C1C00 8086AC24
	v_mfma_i32_16x16x32_i8 v[148:151], a[42:43], v[218:219], v[148:151]// 000000007A2C: D3D70094 0E53B52A
	v_mfma_i32_16x16x32_i8 v[148:151], a[44:45], v[220:221], v[148:151]// 000000007A34: D3D70094 0E53B92C
	ds_read_b128 v[236:239], v2 offset:8512                    // 000000007A3C: D9FE2140 EC000002
	v_mfma_i32_16x16x32_i8 v[148:151], a[46:47], v[222:223], v[148:151]// 000000007A44: D3D70094 0E53BD2E
	v_mfma_i32_16x16x32_i8 v[152:155], a[48:49], v[192:193], v[152:155]// 000000007A4C: D3D70098 0E638130
	buffer_load_dwordx4 a[176:179], v37, s[24:27], 0 offen     // 000000007A54: E05C1000 8086B025
	v_mfma_i32_16x16x32_i8 v[152:155], a[50:51], v[194:195], v[152:155]// 000000007A5C: D3D70098 0E638532
	v_mfma_i32_16x16x32_i8 v[152:155], a[52:53], v[196:197], v[152:155]// 000000007A64: D3D70098 0E638934
	ds_read_b128 v[240:243], v2 offset:9344                    // 000000007A6C: D9FE2480 F0000002
	v_mfma_i32_16x16x32_i8 v[152:155], a[54:55], v[198:199], v[152:155]// 000000007A74: D3D70098 0E638D36
	v_mfma_i32_16x16x32_i8 v[152:155], a[56:57], v[200:201], v[152:155]// 000000007A7C: D3D70098 0E639138
	buffer_load_dwordx4 a[180:183], v37, s[24:27], 0 offen offset:1024// 000000007A84: E05C1400 8086B425
	v_mfma_i32_16x16x32_i8 v[152:155], a[58:59], v[202:203], v[152:155]// 000000007A8C: D3D70098 0E63953A
	v_mfma_i32_16x16x32_i8 v[152:155], a[60:61], v[204:205], v[152:155]// 000000007A94: D3D70098 0E63993C
	ds_read_b128 v[244:247], v2 offset:9408                    // 000000007A9C: D9FE24C0 F4000002
	v_mfma_i32_16x16x32_i8 v[152:155], a[62:63], v[206:207], v[152:155]// 000000007AA4: D3D70098 0E639D3E
	v_mfma_i32_16x16x32_i8 v[156:159], a[48:49], v[208:209], v[156:159]// 000000007AAC: D3D7009C 0E73A130
	buffer_load_dwordx4 a[184:187], v37, s[24:27], 0 offen offset:2048// 000000007AB4: E05C1800 8086B825
	v_mfma_i32_16x16x32_i8 v[156:159], a[50:51], v[210:211], v[156:159]// 000000007ABC: D3D7009C 0E73A532
	v_mfma_i32_16x16x32_i8 v[156:159], a[52:53], v[212:213], v[156:159]// 000000007AC4: D3D7009C 0E73A934
	ds_read_b128 v[248:251], v2 offset:9472                    // 000000007ACC: D9FE2500 F8000002
	v_mfma_i32_16x16x32_i8 v[156:159], a[54:55], v[214:215], v[156:159]// 000000007AD4: D3D7009C 0E73AD36
	v_mfma_i32_16x16x32_i8 v[156:159], a[56:57], v[216:217], v[156:159]// 000000007ADC: D3D7009C 0E73B138
	buffer_load_dwordx4 a[188:191], v37, s[24:27], 0 offen offset:3072// 000000007AE4: E05C1C00 8086BC25
	v_mfma_i32_16x16x32_i8 v[156:159], a[58:59], v[218:219], v[156:159]// 000000007AEC: D3D7009C 0E73B53A
	v_mfma_i32_16x16x32_i8 v[156:159], a[60:61], v[220:221], v[156:159]// 000000007AF4: D3D7009C 0E73B93C
	ds_read_b128 v[252:255], v2 offset:9536                    // 000000007AFC: D9FE2540 FC000002
	v_mfma_i32_16x16x32_i8 v[156:159], a[62:63], v[222:223], v[156:159]// 000000007B04: D3D7009C 0E73BD3E
	s_waitcnt vmcnt(32)                                        // 000000007B0C: BF8C8F70
	v_mfma_i32_16x16x32_i8 v[160:163], a[64:65], v[192:193], v[160:163]// 000000007B10: D3D700A0 0E838140
	buffer_load_dwordx4 a[192:195], v38, s[24:27], 0 offen     // 000000007B18: E05C1000 8086C026
	v_mfma_i32_16x16x32_i8 v[160:163], a[66:67], v[194:195], v[160:163]// 000000007B20: D3D700A0 0E838542
	v_mfma_i32_16x16x32_i8 v[160:163], a[68:69], v[196:197], v[160:163]// 000000007B28: D3D700A0 0E838944
	s_add_u32 s60, 0x300, s80                                  // 000000007B30: 803C50FF 00000300
	s_cmp_lt_u32 s60, s81                                      // 000000007B38: BF0A513C
	s_cselect_b32 s57, s57, 0                                  // 000000007B3C: 85398039
	v_mfma_i32_16x16x32_i8 v[160:163], a[70:71], v[198:199], v[160:163]// 000000007B40: D3D700A0 0E838D46
	v_mfma_i32_16x16x32_i8 v[160:163], a[72:73], v[200:201], v[160:163]// 000000007B48: D3D700A0 0E839148
	buffer_load_dwordx4 a[196:199], v38, s[24:27], 0 offen offset:1024// 000000007B50: E05C1400 8086C426
	v_mfma_i32_16x16x32_i8 v[160:163], a[74:75], v[202:203], v[160:163]// 000000007B58: D3D700A0 0E83954A
	v_mfma_i32_16x16x32_i8 v[160:163], a[76:77], v[204:205], v[160:163]// 000000007B60: D3D700A0 0E83994C
	s_add_u32 s60, 0x200, s80                                  // 000000007B68: 803C50FF 00000200
	s_cmp_lt_u32 s60, s81                                      // 000000007B70: BF0A513C
	s_cselect_b32 s58, s58, 0                                  // 000000007B74: 853A803A
	v_mfma_i32_16x16x32_i8 v[160:163], a[78:79], v[206:207], v[160:163]// 000000007B78: D3D700A0 0E839D4E
	v_mfma_i32_16x16x32_i8 v[164:167], a[64:65], v[208:209], v[164:167]// 000000007B80: D3D700A4 0E93A140
	buffer_load_dwordx4 a[200:203], v38, s[24:27], 0 offen offset:2048// 000000007B88: E05C1800 8086C826
	v_mfma_i32_16x16x32_i8 v[164:167], a[66:67], v[210:211], v[164:167]// 000000007B90: D3D700A4 0E93A542
	v_mfma_i32_16x16x32_i8 v[164:167], a[68:69], v[212:213], v[164:167]// 000000007B98: D3D700A4 0E93A944
	s_add_u32 s20, s57, s20                                    // 000000007BA0: 80141439
	s_addc_u32 s21, 0, s21                                     // 000000007BA4: 82151580
	v_mfma_i32_16x16x32_i8 v[164:167], a[70:71], v[214:215], v[164:167]// 000000007BA8: D3D700A4 0E93AD46
	v_mfma_i32_16x16x32_i8 v[164:167], a[72:73], v[216:217], v[164:167]// 000000007BB0: D3D700A4 0E93B148
	buffer_load_dwordx4 a[204:207], v38, s[24:27], 0 offen offset:3072// 000000007BB8: E05C1C00 8086CC26
	v_mfma_i32_16x16x32_i8 v[164:167], a[74:75], v[218:219], v[164:167]// 000000007BC0: D3D700A4 0E93B54A
	v_mfma_i32_16x16x32_i8 v[164:167], a[76:77], v[220:221], v[164:167]// 000000007BC8: D3D700A4 0E93B94C
	v_mfma_i32_16x16x32_i8 v[164:167], a[78:79], v[222:223], v[164:167]// 000000007BD0: D3D700A4 0E93BD4E
	v_mfma_i32_16x16x32_i8 v[168:171], a[80:81], v[192:193], v[168:171]// 000000007BD8: D3D700A8 0EA38150
	buffer_load_dwordx4 a[208:211], v39, s[24:27], 0 offen     // 000000007BE0: E05C1000 8086D027
	v_mfma_i32_16x16x32_i8 v[168:171], a[82:83], v[194:195], v[168:171]// 000000007BE8: D3D700A8 0EA38552
	v_mfma_i32_16x16x32_i8 v[168:171], a[84:85], v[196:197], v[168:171]// 000000007BF0: D3D700A8 0EA38954
	v_mfma_i32_16x16x32_i8 v[168:171], a[86:87], v[198:199], v[168:171]// 000000007BF8: D3D700A8 0EA38D56
	v_mfma_i32_16x16x32_i8 v[168:171], a[88:89], v[200:201], v[168:171]// 000000007C00: D3D700A8 0EA39158
	buffer_load_dwordx4 a[212:215], v39, s[24:27], 0 offen offset:1024// 000000007C08: E05C1400 8086D427
	v_mfma_i32_16x16x32_i8 v[168:171], a[90:91], v[202:203], v[168:171]// 000000007C10: D3D700A8 0EA3955A
	v_mfma_i32_16x16x32_i8 v[168:171], a[92:93], v[204:205], v[168:171]// 000000007C18: D3D700A8 0EA3995C
	v_mfma_i32_16x16x32_i8 v[168:171], a[94:95], v[206:207], v[168:171]// 000000007C20: D3D700A8 0EA39D5E
	v_mfma_i32_16x16x32_i8 v[172:175], a[80:81], v[208:209], v[172:175]// 000000007C28: D3D700AC 0EB3A150
	buffer_load_dwordx4 a[216:219], v39, s[24:27], 0 offen offset:2048// 000000007C30: E05C1800 8086D827
	v_mfma_i32_16x16x32_i8 v[172:175], a[82:83], v[210:211], v[172:175]// 000000007C38: D3D700AC 0EB3A552
	v_mfma_i32_16x16x32_i8 v[172:175], a[84:85], v[212:213], v[172:175]// 000000007C40: D3D700AC 0EB3A954
	v_mfma_i32_16x16x32_i8 v[172:175], a[86:87], v[214:215], v[172:175]// 000000007C48: D3D700AC 0EB3AD56
	v_mfma_i32_16x16x32_i8 v[172:175], a[88:89], v[216:217], v[172:175]// 000000007C50: D3D700AC 0EB3B158
	buffer_load_dwordx4 a[220:223], v39, s[24:27], 0 offen offset:3072// 000000007C58: E05C1C00 8086DC27
	v_mfma_i32_16x16x32_i8 v[172:175], a[90:91], v[218:219], v[172:175]// 000000007C60: D3D700AC 0EB3B55A
	v_mfma_i32_16x16x32_i8 v[172:175], a[92:93], v[220:221], v[172:175]// 000000007C68: D3D700AC 0EB3B95C
	v_mfma_i32_16x16x32_i8 v[172:175], a[94:95], v[222:223], v[172:175]// 000000007C70: D3D700AC 0EB3BD5E
	s_waitcnt vmcnt(32)                                        // 000000007C78: BF8C8F70
	v_mfma_i32_16x16x32_i8 v[176:179], a[96:97], v[192:193], v[176:179]// 000000007C7C: D3D700B0 0EC38160
	buffer_load_dwordx4 a[224:227], v40, s[24:27], 0 offen     // 000000007C84: E05C1000 8086E028
	v_mfma_i32_16x16x32_i8 v[176:179], a[98:99], v[194:195], v[176:179]// 000000007C8C: D3D700B0 0EC38562
	v_mfma_i32_16x16x32_i8 v[176:179], a[100:101], v[196:197], v[176:179]// 000000007C94: D3D700B0 0EC38964
	v_mfma_i32_16x16x32_i8 v[176:179], a[102:103], v[198:199], v[176:179]// 000000007C9C: D3D700B0 0EC38D66
	v_mfma_i32_16x16x32_i8 v[176:179], a[104:105], v[200:201], v[176:179]// 000000007CA4: D3D700B0 0EC39168
	buffer_load_dwordx4 a[228:231], v40, s[24:27], 0 offen offset:1024// 000000007CAC: E05C1400 8086E428
	v_mfma_i32_16x16x32_i8 v[176:179], a[106:107], v[202:203], v[176:179]// 000000007CB4: D3D700B0 0EC3956A
	v_mfma_i32_16x16x32_i8 v[176:179], a[108:109], v[204:205], v[176:179]// 000000007CBC: D3D700B0 0EC3996C
	v_mfma_i32_16x16x32_i8 v[176:179], a[110:111], v[206:207], v[176:179]// 000000007CC4: D3D700B0 0EC39D6E
	v_mfma_i32_16x16x32_i8 v[180:183], a[96:97], v[208:209], v[180:183]// 000000007CCC: D3D700B4 0ED3A160
	buffer_load_dwordx4 a[232:235], v40, s[24:27], 0 offen offset:2048// 000000007CD4: E05C1800 8086E828
	v_mfma_i32_16x16x32_i8 v[180:183], a[98:99], v[210:211], v[180:183]// 000000007CDC: D3D700B4 0ED3A562
	v_mfma_i32_16x16x32_i8 v[180:183], a[100:101], v[212:213], v[180:183]// 000000007CE4: D3D700B4 0ED3A964
	v_mfma_i32_16x16x32_i8 v[180:183], a[102:103], v[214:215], v[180:183]// 000000007CEC: D3D700B4 0ED3AD66
	v_mfma_i32_16x16x32_i8 v[180:183], a[104:105], v[216:217], v[180:183]// 000000007CF4: D3D700B4 0ED3B168
	buffer_load_dwordx4 a[236:239], v40, s[24:27], 0 offen offset:3072// 000000007CFC: E05C1C00 8086EC28
	v_mfma_i32_16x16x32_i8 v[180:183], a[106:107], v[218:219], v[180:183]// 000000007D04: D3D700B4 0ED3B56A
	v_mfma_i32_16x16x32_i8 v[180:183], a[108:109], v[220:221], v[180:183]// 000000007D0C: D3D700B4 0ED3B96C
	v_mfma_i32_16x16x32_i8 v[180:183], a[110:111], v[222:223], v[180:183]// 000000007D14: D3D700B4 0ED3BD6E
	v_mfma_i32_16x16x32_i8 v[184:187], a[112:113], v[192:193], v[184:187]// 000000007D1C: D3D700B8 0EE38170
	buffer_load_dwordx4 a[240:243], v41, s[24:27], 0 offen     // 000000007D24: E05C1000 8086F029
	v_mfma_i32_16x16x32_i8 v[184:187], a[114:115], v[194:195], v[184:187]// 000000007D2C: D3D700B8 0EE38572
	v_mfma_i32_16x16x32_i8 v[184:187], a[116:117], v[196:197], v[184:187]// 000000007D34: D3D700B8 0EE38974
	v_mfma_i32_16x16x32_i8 v[184:187], a[118:119], v[198:199], v[184:187]// 000000007D3C: D3D700B8 0EE38D76
	v_mfma_i32_16x16x32_i8 v[184:187], a[120:121], v[200:201], v[184:187]// 000000007D44: D3D700B8 0EE39178
	buffer_load_dwordx4 a[244:247], v41, s[24:27], 0 offen offset:1024// 000000007D4C: E05C1400 8086F429
	v_mfma_i32_16x16x32_i8 v[184:187], a[122:123], v[202:203], v[184:187]// 000000007D54: D3D700B8 0EE3957A
	v_mfma_i32_16x16x32_i8 v[184:187], a[124:125], v[204:205], v[184:187]// 000000007D5C: D3D700B8 0EE3997C
	v_mfma_i32_16x16x32_i8 v[184:187], a[126:127], v[206:207], v[184:187]// 000000007D64: D3D700B8 0EE39D7E
	v_mfma_i32_16x16x32_i8 v[188:191], a[112:113], v[208:209], v[188:191]// 000000007D6C: D3D700BC 0EF3A170
	buffer_load_dwordx4 a[248:251], v41, s[24:27], 0 offen offset:2048// 000000007D74: E05C1800 8086F829
	v_mfma_i32_16x16x32_i8 v[188:191], a[114:115], v[210:211], v[188:191]// 000000007D7C: D3D700BC 0EF3A572
	v_mfma_i32_16x16x32_i8 v[188:191], a[116:117], v[212:213], v[188:191]// 000000007D84: D3D700BC 0EF3A974
	v_mfma_i32_16x16x32_i8 v[188:191], a[118:119], v[214:215], v[188:191]// 000000007D8C: D3D700BC 0EF3AD76
	v_mfma_i32_16x16x32_i8 v[188:191], a[120:121], v[216:217], v[188:191]// 000000007D94: D3D700BC 0EF3B178
	buffer_load_dwordx4 a[252:255], v41, s[24:27], 0 offen offset:3072// 000000007D9C: E05C1C00 8086FC29
	v_mfma_i32_16x16x32_i8 v[188:191], a[122:123], v[218:219], v[188:191]// 000000007DA4: D3D700BC 0EF3B57A
	v_mfma_i32_16x16x32_i8 v[188:191], a[124:125], v[220:221], v[188:191]// 000000007DAC: D3D700BC 0EF3B97C
	s_add_u32 s24, s58, s24                                    // 000000007DB4: 8018183A
	s_addc_u32 s25, 0, s25                                     // 000000007DB8: 82191980
	v_mfma_i32_16x16x32_i8 v[188:191], a[126:127], v[222:223], v[188:191]// 000000007DBC: D3D700BC 0EF3BD7E
	s_addk_i32 s80, 0x100                                      // 000000007DC4: B7500100
	s_cmp_lt_i32 s80, s81                                      // 000000007DC8: BF045150
	s_cbranch_scc0 label_1578                                  // 000000007DCC: BF840184
	s_waitcnt vmcnt(24) lgkmcnt(0)                             // 000000007DD0: BF8C4078
	s_barrier                                                  // 000000007DD4: BF8A0000
	v_mfma_i32_16x16x32_i8 v[128:131], a[128:129], v[224:225], v[128:131]// 000000007DD8: D3D70080 0E03C180
	buffer_load_dwordx4 a[0:3], v34, s[24:27], 0 offen         // 000000007DE0: E05C1000 80860022
	v_mfma_i32_16x16x32_i8 v[128:131], a[130:131], v[226:227], v[128:131]// 000000007DE8: D3D70080 0E03C582
	v_mfma_i32_16x16x32_i8 v[128:131], a[132:133], v[228:229], v[128:131]// 000000007DF0: D3D70080 0E03C984
	buffer_load_dword v26, s[20:23], 0 offen lds               // 000000007DF8: E0511000 8005001A
	s_add_u32 m0, 0x100, s51                                   // 000000007E00: 807C33FF 00000100
	v_mfma_i32_16x16x32_i8 v[128:131], a[134:135], v[230:231], v[128:131]// 000000007E08: D3D70080 0E03CD86
	v_mfma_i32_16x16x32_i8 v[128:131], a[136:137], v[232:233], v[128:131]// 000000007E10: D3D70080 0E03D188
	buffer_load_dwordx4 a[4:7], v34, s[24:27], 0 offen offset:1024// 000000007E18: E05C1400 80860422
	v_mfma_i32_16x16x32_i8 v[128:131], a[138:139], v[234:235], v[128:131]// 000000007E20: D3D70080 0E03D58A
	v_mfma_i32_16x16x32_i8 v[128:131], a[140:141], v[236:237], v[128:131]// 000000007E28: D3D70080 0E03D98C
	buffer_load_dword v27, s[20:23], 0 offen lds               // 000000007E30: E0511000 8005001B
	s_add_u32 m0, 0x200, s51                                   // 000000007E38: 807C33FF 00000200
	v_mfma_i32_16x16x32_i8 v[128:131], a[142:143], v[238:239], v[128:131]// 000000007E40: D3D70080 0E03DD8E
	v_mfma_i32_16x16x32_i8 v[132:135], a[128:129], v[240:241], v[132:135]// 000000007E48: D3D70084 0E13E180
	buffer_load_dwordx4 a[8:11], v34, s[24:27], 0 offen offset:2048// 000000007E50: E05C1800 80860822
	v_mfma_i32_16x16x32_i8 v[132:135], a[130:131], v[242:243], v[132:135]// 000000007E58: D3D70084 0E13E582
	v_mfma_i32_16x16x32_i8 v[132:135], a[132:133], v[244:245], v[132:135]// 000000007E60: D3D70084 0E13E984
	buffer_load_dword v28, s[20:23], 0 offen lds               // 000000007E68: E0511000 8005001C
	s_add_u32 m0, 0x300, s51                                   // 000000007E70: 807C33FF 00000300
	v_mfma_i32_16x16x32_i8 v[132:135], a[134:135], v[246:247], v[132:135]// 000000007E78: D3D70084 0E13ED86
	v_mfma_i32_16x16x32_i8 v[132:135], a[136:137], v[248:249], v[132:135]// 000000007E80: D3D70084 0E13F188
	buffer_load_dwordx4 a[12:15], v34, s[24:27], 0 offen offset:3072// 000000007E88: E05C1C00 80860C22
	v_mfma_i32_16x16x32_i8 v[132:135], a[138:139], v[250:251], v[132:135]// 000000007E90: D3D70084 0E13F58A
	v_mfma_i32_16x16x32_i8 v[132:135], a[140:141], v[252:253], v[132:135]// 000000007E98: D3D70084 0E13F98C
	buffer_load_dword v29, s[20:23], 0 offen lds               // 000000007EA0: E0511000 8005001D
	s_add_u32 m0, 0x400, s51                                   // 000000007EA8: 807C33FF 00000400
	v_mfma_i32_16x16x32_i8 v[132:135], a[142:143], v[254:255], v[132:135]// 000000007EB0: D3D70084 0E13FD8E
	v_mfma_i32_16x16x32_i8 v[136:139], a[144:145], v[224:225], v[136:139]// 000000007EB8: D3D70088 0E23C190
	buffer_load_dwordx4 a[16:19], v35, s[24:27], 0 offen       // 000000007EC0: E05C1000 80861023
	v_mfma_i32_16x16x32_i8 v[136:139], a[146:147], v[226:227], v[136:139]// 000000007EC8: D3D70088 0E23C592
	v_mfma_i32_16x16x32_i8 v[136:139], a[148:149], v[228:229], v[136:139]// 000000007ED0: D3D70088 0E23C994
	buffer_load_dword v30, s[20:23], 0 offen lds               // 000000007ED8: E0511000 8005001E
	s_add_u32 m0, 0x500, s51                                   // 000000007EE0: 807C33FF 00000500
	v_mfma_i32_16x16x32_i8 v[136:139], a[150:151], v[230:231], v[136:139]// 000000007EE8: D3D70088 0E23CD96
	v_mfma_i32_16x16x32_i8 v[136:139], a[152:153], v[232:233], v[136:139]// 000000007EF0: D3D70088 0E23D198
	buffer_load_dwordx4 a[20:23], v35, s[24:27], 0 offen offset:1024// 000000007EF8: E05C1400 80861423
	v_mfma_i32_16x16x32_i8 v[136:139], a[154:155], v[234:235], v[136:139]// 000000007F00: D3D70088 0E23D59A
	v_mfma_i32_16x16x32_i8 v[136:139], a[156:157], v[236:237], v[136:139]// 000000007F08: D3D70088 0E23D99C
	buffer_load_dword v31, s[20:23], 0 offen lds               // 000000007F10: E0511000 8005001F
	s_add_u32 m0, 0x600, s51                                   // 000000007F18: 807C33FF 00000600
	v_mfma_i32_16x16x32_i8 v[136:139], a[158:159], v[238:239], v[136:139]// 000000007F20: D3D70088 0E23DD9E
	v_mfma_i32_16x16x32_i8 v[140:143], a[144:145], v[240:241], v[140:143]// 000000007F28: D3D7008C 0E33E190
	buffer_load_dwordx4 a[24:27], v35, s[24:27], 0 offen offset:2048// 000000007F30: E05C1800 80861823
	v_mfma_i32_16x16x32_i8 v[140:143], a[146:147], v[242:243], v[140:143]// 000000007F38: D3D7008C 0E33E592
	v_mfma_i32_16x16x32_i8 v[140:143], a[148:149], v[244:245], v[140:143]// 000000007F40: D3D7008C 0E33E994
	buffer_load_dword v32, s[20:23], 0 offen lds               // 000000007F48: E0511000 80050020
	s_add_u32 m0, 0x700, s51                                   // 000000007F50: 807C33FF 00000700
	v_mfma_i32_16x16x32_i8 v[140:143], a[150:151], v[246:247], v[140:143]// 000000007F58: D3D7008C 0E33ED96
	v_mfma_i32_16x16x32_i8 v[140:143], a[152:153], v[248:249], v[140:143]// 000000007F60: D3D7008C 0E33F198
	buffer_load_dwordx4 a[28:31], v35, s[24:27], 0 offen offset:3072// 000000007F68: E05C1C00 80861C23
	v_mfma_i32_16x16x32_i8 v[140:143], a[154:155], v[250:251], v[140:143]// 000000007F70: D3D7008C 0E33F59A
	v_mfma_i32_16x16x32_i8 v[140:143], a[156:157], v[252:253], v[140:143]// 000000007F78: D3D7008C 0E33F99C
	buffer_load_dword v33, s[20:23], 0 offen lds               // 000000007F80: E0511000 80050021
	s_add_u32 m0, 0, s50                                       // 000000007F88: 807C3280
	v_mfma_i32_16x16x32_i8 v[140:143], a[158:159], v[254:255], v[140:143]// 000000007F8C: D3D7008C 0E33FD9E
	s_waitcnt vmcnt(32)                                        // 000000007F94: BF8C8F70
	v_mfma_i32_16x16x32_i8 v[144:147], a[160:161], v[224:225], v[144:147]// 000000007F98: D3D70090 0E43C1A0
	buffer_load_dwordx4 a[32:35], v36, s[24:27], 0 offen       // 000000007FA0: E05C1000 80862024
	v_mfma_i32_16x16x32_i8 v[144:147], a[162:163], v[226:227], v[144:147]// 000000007FA8: D3D70090 0E43C5A2
	v_mfma_i32_16x16x32_i8 v[144:147], a[164:165], v[228:229], v[144:147]// 000000007FB0: D3D70090 0E43C9A4
	ds_read_b128 v[192:195], v2                                // 000000007FB8: D9FE0000 C0000002
	v_mfma_i32_16x16x32_i8 v[144:147], a[166:167], v[230:231], v[144:147]// 000000007FC0: D3D70090 0E43CDA6
	v_mfma_i32_16x16x32_i8 v[144:147], a[168:169], v[232:233], v[144:147]// 000000007FC8: D3D70090 0E43D1A8
	buffer_load_dwordx4 a[36:39], v36, s[24:27], 0 offen offset:1024// 000000007FD0: E05C1400 80862424
	v_mfma_i32_16x16x32_i8 v[144:147], a[170:171], v[234:235], v[144:147]// 000000007FD8: D3D70090 0E43D5AA
	v_mfma_i32_16x16x32_i8 v[144:147], a[172:173], v[236:237], v[144:147]// 000000007FE0: D3D70090 0E43D9AC
	ds_read_b128 v[196:199], v2 offset:64                      // 000000007FE8: D9FE0040 C4000002
	v_mfma_i32_16x16x32_i8 v[144:147], a[174:175], v[238:239], v[144:147]// 000000007FF0: D3D70090 0E43DDAE
	v_mfma_i32_16x16x32_i8 v[148:151], a[160:161], v[240:241], v[148:151]// 000000007FF8: D3D70094 0E53E1A0
	buffer_load_dwordx4 a[40:43], v36, s[24:27], 0 offen offset:2048// 000000008000: E05C1800 80862824
	v_mfma_i32_16x16x32_i8 v[148:151], a[162:163], v[242:243], v[148:151]// 000000008008: D3D70094 0E53E5A2
	v_mfma_i32_16x16x32_i8 v[148:151], a[164:165], v[244:245], v[148:151]// 000000008010: D3D70094 0E53E9A4
	ds_read_b128 v[200:203], v2 offset:128                     // 000000008018: D9FE0080 C8000002
	v_mfma_i32_16x16x32_i8 v[148:151], a[166:167], v[246:247], v[148:151]// 000000008020: D3D70094 0E53EDA6
	v_mfma_i32_16x16x32_i8 v[148:151], a[168:169], v[248:249], v[148:151]// 000000008028: D3D70094 0E53F1A8
	buffer_load_dwordx4 a[44:47], v36, s[24:27], 0 offen offset:3072// 000000008030: E05C1C00 80862C24
	v_mfma_i32_16x16x32_i8 v[148:151], a[170:171], v[250:251], v[148:151]// 000000008038: D3D70094 0E53F5AA
	v_mfma_i32_16x16x32_i8 v[148:151], a[172:173], v[252:253], v[148:151]// 000000008040: D3D70094 0E53F9AC
	ds_read_b128 v[204:207], v2 offset:192                     // 000000008048: D9FE00C0 CC000002
	v_mfma_i32_16x16x32_i8 v[148:151], a[174:175], v[254:255], v[148:151]// 000000008050: D3D70094 0E53FDAE
	v_mfma_i32_16x16x32_i8 v[152:155], a[176:177], v[224:225], v[152:155]// 000000008058: D3D70098 0E63C1B0
	buffer_load_dwordx4 a[48:51], v37, s[24:27], 0 offen       // 000000008060: E05C1000 80863025
	v_mfma_i32_16x16x32_i8 v[152:155], a[178:179], v[226:227], v[152:155]// 000000008068: D3D70098 0E63C5B2
	v_mfma_i32_16x16x32_i8 v[152:155], a[180:181], v[228:229], v[152:155]// 000000008070: D3D70098 0E63C9B4
	ds_read_b128 v[208:211], v2 offset:1024                    // 000000008078: D9FE0400 D0000002
	v_mfma_i32_16x16x32_i8 v[152:155], a[182:183], v[230:231], v[152:155]// 000000008080: D3D70098 0E63CDB6
	v_mfma_i32_16x16x32_i8 v[152:155], a[184:185], v[232:233], v[152:155]// 000000008088: D3D70098 0E63D1B8
	buffer_load_dwordx4 a[52:55], v37, s[24:27], 0 offen offset:1024// 000000008090: E05C1400 80863425
	v_mfma_i32_16x16x32_i8 v[152:155], a[186:187], v[234:235], v[152:155]// 000000008098: D3D70098 0E63D5BA
	v_mfma_i32_16x16x32_i8 v[152:155], a[188:189], v[236:237], v[152:155]// 0000000080A0: D3D70098 0E63D9BC
	ds_read_b128 v[212:215], v2 offset:1088                    // 0000000080A8: D9FE0440 D4000002
	v_mfma_i32_16x16x32_i8 v[152:155], a[190:191], v[238:239], v[152:155]// 0000000080B0: D3D70098 0E63DDBE
	v_mfma_i32_16x16x32_i8 v[156:159], a[176:177], v[240:241], v[156:159]// 0000000080B8: D3D7009C 0E73E1B0
	buffer_load_dwordx4 a[56:59], v37, s[24:27], 0 offen offset:2048// 0000000080C0: E05C1800 80863825
	v_mfma_i32_16x16x32_i8 v[156:159], a[178:179], v[242:243], v[156:159]// 0000000080C8: D3D7009C 0E73E5B2
	v_mfma_i32_16x16x32_i8 v[156:159], a[180:181], v[244:245], v[156:159]// 0000000080D0: D3D7009C 0E73E9B4
	ds_read_b128 v[216:219], v2 offset:1152                    // 0000000080D8: D9FE0480 D8000002
	v_mfma_i32_16x16x32_i8 v[156:159], a[182:183], v[246:247], v[156:159]// 0000000080E0: D3D7009C 0E73EDB6
	v_mfma_i32_16x16x32_i8 v[156:159], a[184:185], v[248:249], v[156:159]// 0000000080E8: D3D7009C 0E73F1B8
	buffer_load_dwordx4 a[60:63], v37, s[24:27], 0 offen offset:3072// 0000000080F0: E05C1C00 80863C25
	v_mfma_i32_16x16x32_i8 v[156:159], a[186:187], v[250:251], v[156:159]// 0000000080F8: D3D7009C 0E73F5BA
	v_mfma_i32_16x16x32_i8 v[156:159], a[188:189], v[252:253], v[156:159]// 000000008100: D3D7009C 0E73F9BC
	ds_read_b128 v[220:223], v2 offset:1216                    // 000000008108: D9FE04C0 DC000002
	v_mfma_i32_16x16x32_i8 v[156:159], a[190:191], v[254:255], v[156:159]// 000000008110: D3D7009C 0E73FDBE
	s_waitcnt vmcnt(32)                                        // 000000008118: BF8C8F70
	v_mfma_i32_16x16x32_i8 v[160:163], a[192:193], v[224:225], v[160:163]// 00000000811C: D3D700A0 0E83C1C0
	buffer_load_dwordx4 a[64:67], v38, s[24:27], 0 offen       // 000000008124: E05C1000 80864026
	v_mfma_i32_16x16x32_i8 v[160:163], a[194:195], v[226:227], v[160:163]// 00000000812C: D3D700A0 0E83C5C2
	v_mfma_i32_16x16x32_i8 v[160:163], a[196:197], v[228:229], v[160:163]// 000000008134: D3D700A0 0E83C9C4
	s_add_u32 s60, 0x300, s80                                  // 00000000813C: 803C50FF 00000300
	s_cmp_lt_u32 s60, s81                                      // 000000008144: BF0A513C
	s_cselect_b32 s57, s57, 0                                  // 000000008148: 85398039
	v_mfma_i32_16x16x32_i8 v[160:163], a[198:199], v[230:231], v[160:163]// 00000000814C: D3D700A0 0E83CDC6
	v_mfma_i32_16x16x32_i8 v[160:163], a[200:201], v[232:233], v[160:163]// 000000008154: D3D700A0 0E83D1C8
	buffer_load_dwordx4 a[68:71], v38, s[24:27], 0 offen offset:1024// 00000000815C: E05C1400 80864426
	v_mfma_i32_16x16x32_i8 v[160:163], a[202:203], v[234:235], v[160:163]// 000000008164: D3D700A0 0E83D5CA
	v_mfma_i32_16x16x32_i8 v[160:163], a[204:205], v[236:237], v[160:163]// 00000000816C: D3D700A0 0E83D9CC
	s_add_u32 s60, 0x200, s80                                  // 000000008174: 803C50FF 00000200
	s_cmp_lt_u32 s60, s81                                      // 00000000817C: BF0A513C
	s_cselect_b32 s58, s58, 0                                  // 000000008180: 853A803A
	v_mfma_i32_16x16x32_i8 v[160:163], a[206:207], v[238:239], v[160:163]// 000000008184: D3D700A0 0E83DDCE
	v_mfma_i32_16x16x32_i8 v[164:167], a[192:193], v[240:241], v[164:167]// 00000000818C: D3D700A4 0E93E1C0
	buffer_load_dwordx4 a[72:75], v38, s[24:27], 0 offen offset:2048// 000000008194: E05C1800 80864826
	v_mfma_i32_16x16x32_i8 v[164:167], a[194:195], v[242:243], v[164:167]// 00000000819C: D3D700A4 0E93E5C2
	v_mfma_i32_16x16x32_i8 v[164:167], a[196:197], v[244:245], v[164:167]// 0000000081A4: D3D700A4 0E93E9C4
	s_add_u32 s20, s57, s20                                    // 0000000081AC: 80141439
	s_addc_u32 s21, 0, s21                                     // 0000000081B0: 82151580
	v_mfma_i32_16x16x32_i8 v[164:167], a[198:199], v[246:247], v[164:167]// 0000000081B4: D3D700A4 0E93EDC6
	v_mfma_i32_16x16x32_i8 v[164:167], a[200:201], v[248:249], v[164:167]// 0000000081BC: D3D700A4 0E93F1C8
	buffer_load_dwordx4 a[76:79], v38, s[24:27], 0 offen offset:3072// 0000000081C4: E05C1C00 80864C26
	v_mfma_i32_16x16x32_i8 v[164:167], a[202:203], v[250:251], v[164:167]// 0000000081CC: D3D700A4 0E93F5CA
	v_mfma_i32_16x16x32_i8 v[164:167], a[204:205], v[252:253], v[164:167]// 0000000081D4: D3D700A4 0E93F9CC
	v_mfma_i32_16x16x32_i8 v[164:167], a[206:207], v[254:255], v[164:167]// 0000000081DC: D3D700A4 0E93FDCE
	v_mfma_i32_16x16x32_i8 v[168:171], a[208:209], v[224:225], v[168:171]// 0000000081E4: D3D700A8 0EA3C1D0
	buffer_load_dwordx4 a[80:83], v39, s[24:27], 0 offen       // 0000000081EC: E05C1000 80865027
	v_mfma_i32_16x16x32_i8 v[168:171], a[210:211], v[226:227], v[168:171]// 0000000081F4: D3D700A8 0EA3C5D2
	v_mfma_i32_16x16x32_i8 v[168:171], a[212:213], v[228:229], v[168:171]// 0000000081FC: D3D700A8 0EA3C9D4
	v_mfma_i32_16x16x32_i8 v[168:171], a[214:215], v[230:231], v[168:171]// 000000008204: D3D700A8 0EA3CDD6
	v_mfma_i32_16x16x32_i8 v[168:171], a[216:217], v[232:233], v[168:171]// 00000000820C: D3D700A8 0EA3D1D8
	buffer_load_dwordx4 a[84:87], v39, s[24:27], 0 offen offset:1024// 000000008214: E05C1400 80865427
	v_mfma_i32_16x16x32_i8 v[168:171], a[218:219], v[234:235], v[168:171]// 00000000821C: D3D700A8 0EA3D5DA
	v_mfma_i32_16x16x32_i8 v[168:171], a[220:221], v[236:237], v[168:171]// 000000008224: D3D700A8 0EA3D9DC
	v_mfma_i32_16x16x32_i8 v[168:171], a[222:223], v[238:239], v[168:171]// 00000000822C: D3D700A8 0EA3DDDE
	v_mfma_i32_16x16x32_i8 v[172:175], a[208:209], v[240:241], v[172:175]// 000000008234: D3D700AC 0EB3E1D0
	buffer_load_dwordx4 a[88:91], v39, s[24:27], 0 offen offset:2048// 00000000823C: E05C1800 80865827
	v_mfma_i32_16x16x32_i8 v[172:175], a[210:211], v[242:243], v[172:175]// 000000008244: D3D700AC 0EB3E5D2
	v_mfma_i32_16x16x32_i8 v[172:175], a[212:213], v[244:245], v[172:175]// 00000000824C: D3D700AC 0EB3E9D4
	v_mfma_i32_16x16x32_i8 v[172:175], a[214:215], v[246:247], v[172:175]// 000000008254: D3D700AC 0EB3EDD6
	v_mfma_i32_16x16x32_i8 v[172:175], a[216:217], v[248:249], v[172:175]// 00000000825C: D3D700AC 0EB3F1D8
	buffer_load_dwordx4 a[92:95], v39, s[24:27], 0 offen offset:3072// 000000008264: E05C1C00 80865C27
	v_mfma_i32_16x16x32_i8 v[172:175], a[218:219], v[250:251], v[172:175]// 00000000826C: D3D700AC 0EB3F5DA
	v_mfma_i32_16x16x32_i8 v[172:175], a[220:221], v[252:253], v[172:175]// 000000008274: D3D700AC 0EB3F9DC
	v_mfma_i32_16x16x32_i8 v[172:175], a[222:223], v[254:255], v[172:175]// 00000000827C: D3D700AC 0EB3FDDE
	s_waitcnt vmcnt(32)                                        // 000000008284: BF8C8F70
	v_mfma_i32_16x16x32_i8 v[176:179], a[224:225], v[224:225], v[176:179]// 000000008288: D3D700B0 0EC3C1E0
	buffer_load_dwordx4 a[96:99], v40, s[24:27], 0 offen       // 000000008290: E05C1000 80866028
	v_mfma_i32_16x16x32_i8 v[176:179], a[226:227], v[226:227], v[176:179]// 000000008298: D3D700B0 0EC3C5E2
	v_mfma_i32_16x16x32_i8 v[176:179], a[228:229], v[228:229], v[176:179]// 0000000082A0: D3D700B0 0EC3C9E4
	v_mfma_i32_16x16x32_i8 v[176:179], a[230:231], v[230:231], v[176:179]// 0000000082A8: D3D700B0 0EC3CDE6
	v_mfma_i32_16x16x32_i8 v[176:179], a[232:233], v[232:233], v[176:179]// 0000000082B0: D3D700B0 0EC3D1E8
	buffer_load_dwordx4 a[100:103], v40, s[24:27], 0 offen offset:1024// 0000000082B8: E05C1400 80866428
	v_mfma_i32_16x16x32_i8 v[176:179], a[234:235], v[234:235], v[176:179]// 0000000082C0: D3D700B0 0EC3D5EA
	v_mfma_i32_16x16x32_i8 v[176:179], a[236:237], v[236:237], v[176:179]// 0000000082C8: D3D700B0 0EC3D9EC
	v_mfma_i32_16x16x32_i8 v[176:179], a[238:239], v[238:239], v[176:179]// 0000000082D0: D3D700B0 0EC3DDEE
	v_mfma_i32_16x16x32_i8 v[180:183], a[224:225], v[240:241], v[180:183]// 0000000082D8: D3D700B4 0ED3E1E0
	buffer_load_dwordx4 a[104:107], v40, s[24:27], 0 offen offset:2048// 0000000082E0: E05C1800 80866828
	v_mfma_i32_16x16x32_i8 v[180:183], a[226:227], v[242:243], v[180:183]// 0000000082E8: D3D700B4 0ED3E5E2
	v_mfma_i32_16x16x32_i8 v[180:183], a[228:229], v[244:245], v[180:183]// 0000000082F0: D3D700B4 0ED3E9E4
	v_mfma_i32_16x16x32_i8 v[180:183], a[230:231], v[246:247], v[180:183]// 0000000082F8: D3D700B4 0ED3EDE6
	v_mfma_i32_16x16x32_i8 v[180:183], a[232:233], v[248:249], v[180:183]// 000000008300: D3D700B4 0ED3F1E8
	buffer_load_dwordx4 a[108:111], v40, s[24:27], 0 offen offset:3072// 000000008308: E05C1C00 80866C28
	v_mfma_i32_16x16x32_i8 v[180:183], a[234:235], v[250:251], v[180:183]// 000000008310: D3D700B4 0ED3F5EA
	v_mfma_i32_16x16x32_i8 v[180:183], a[236:237], v[252:253], v[180:183]// 000000008318: D3D700B4 0ED3F9EC
	v_mfma_i32_16x16x32_i8 v[180:183], a[238:239], v[254:255], v[180:183]// 000000008320: D3D700B4 0ED3FDEE
	v_mfma_i32_16x16x32_i8 v[184:187], a[240:241], v[224:225], v[184:187]// 000000008328: D3D700B8 0EE3C1F0
	buffer_load_dwordx4 a[112:115], v41, s[24:27], 0 offen     // 000000008330: E05C1000 80867029
	v_mfma_i32_16x16x32_i8 v[184:187], a[242:243], v[226:227], v[184:187]// 000000008338: D3D700B8 0EE3C5F2
	v_mfma_i32_16x16x32_i8 v[184:187], a[244:245], v[228:229], v[184:187]// 000000008340: D3D700B8 0EE3C9F4
	v_mfma_i32_16x16x32_i8 v[184:187], a[246:247], v[230:231], v[184:187]// 000000008348: D3D700B8 0EE3CDF6
	v_mfma_i32_16x16x32_i8 v[184:187], a[248:249], v[232:233], v[184:187]// 000000008350: D3D700B8 0EE3D1F8
	buffer_load_dwordx4 a[116:119], v41, s[24:27], 0 offen offset:1024// 000000008358: E05C1400 80867429
	v_mfma_i32_16x16x32_i8 v[184:187], a[250:251], v[234:235], v[184:187]// 000000008360: D3D700B8 0EE3D5FA
	v_mfma_i32_16x16x32_i8 v[184:187], a[252:253], v[236:237], v[184:187]// 000000008368: D3D700B8 0EE3D9FC
	v_mfma_i32_16x16x32_i8 v[184:187], a[254:255], v[238:239], v[184:187]// 000000008370: D3D700B8 0EE3DDFE
	v_mfma_i32_16x16x32_i8 v[188:191], a[240:241], v[240:241], v[188:191]// 000000008378: D3D700BC 0EF3E1F0
	buffer_load_dwordx4 a[120:123], v41, s[24:27], 0 offen offset:2048// 000000008380: E05C1800 80867829
	v_mfma_i32_16x16x32_i8 v[188:191], a[242:243], v[242:243], v[188:191]// 000000008388: D3D700BC 0EF3E5F2
	v_mfma_i32_16x16x32_i8 v[188:191], a[244:245], v[244:245], v[188:191]// 000000008390: D3D700BC 0EF3E9F4
	v_mfma_i32_16x16x32_i8 v[188:191], a[246:247], v[246:247], v[188:191]// 000000008398: D3D700BC 0EF3EDF6
	v_mfma_i32_16x16x32_i8 v[188:191], a[248:249], v[248:249], v[188:191]// 0000000083A0: D3D700BC 0EF3F1F8
	buffer_load_dwordx4 a[124:127], v41, s[24:27], 0 offen offset:3072// 0000000083A8: E05C1C00 80867C29
	v_mfma_i32_16x16x32_i8 v[188:191], a[250:251], v[250:251], v[188:191]// 0000000083B0: D3D700BC 0EF3F5FA
	v_mfma_i32_16x16x32_i8 v[188:191], a[252:253], v[252:253], v[188:191]// 0000000083B8: D3D700BC 0EF3F9FC
	s_add_u32 s24, s58, s24                                    // 0000000083C0: 8018183A
	s_addc_u32 s25, 0, s25                                     // 0000000083C4: 82191980
	v_mfma_i32_16x16x32_i8 v[188:191], a[254:255], v[254:255], v[188:191]// 0000000083C8: D3D700BC 0EF3FDFE
	s_addk_i32 s80, 0x100                                      // 0000000083D0: B7500100
	s_cmp_lt_i32 s80, s81                                      // 0000000083D4: BF045150
	s_cbranch_scc0 label_1578                                  // 0000000083D8: BF840001
	s_branch label_1271                                        // 0000000083DC: BF82FCF9

00000000000083e0 <label_1578>:
	s_mov_b32 s20, 0                                           // 0000000083E0: BE940080
	s_cmp_lt_u32 s91, s66                                      // 0000000083E4: BF0A425B
	s_cselect_b32 s60, 0, 1                                    // 0000000083E8: 853C8180
	s_lshl1_add_u32 s20, s20, s60                              // 0000000083EC: 97143C14
	s_cmp_lt_u32 s90, s66                                      // 0000000083F0: BF0A425A
	s_cselect_b32 s60, 0, 1                                    // 0000000083F4: 853C8180
	s_lshl1_add_u32 s20, s20, s60                              // 0000000083F8: 97143C14
	s_cmp_lt_u32 s89, s66                                      // 0000000083FC: BF0A4259
	s_cselect_b32 s60, 0, 1                                    // 000000008400: 853C8180
	s_lshl1_add_u32 s20, s20, s60                              // 000000008404: 97143C14
	s_cmp_lt_u32 s88, s66                                      // 000000008408: BF0A4258
	s_cselect_b32 s60, 0, 1                                    // 00000000840C: 853C8180
	s_lshl1_add_u32 s20, s20, s60                              // 000000008410: 97143C14
	s_cmp_lt_u32 s87, s66                                      // 000000008414: BF0A4257
	s_cselect_b32 s60, 0, 1                                    // 000000008418: 853C8180
	s_lshl1_add_u32 s20, s20, s60                              // 00000000841C: 97143C14
	s_cmp_lt_u32 s86, s66                                      // 000000008420: BF0A4256
	s_cselect_b32 s60, 0, 1                                    // 000000008424: 853C8180
	s_lshl1_add_u32 s20, s20, s60                              // 000000008428: 97143C14
	s_cmp_lt_u32 s85, s66                                      // 00000000842C: BF0A4255
	s_cselect_b32 s60, 0, 1                                    // 000000008430: 853C8180
	s_lshl1_add_u32 s20, s20, s60                              // 000000008434: 97143C14
	s_cmp_lt_u32 s84, s66                                      // 000000008438: BF0A4254
	s_cselect_b32 s60, 0, 1                                    // 00000000843C: 853C8180
	s_lshl1_add_u32 s20, s20, s60                              // 000000008440: 97143C14
	v_cvt_f32_i32_e32 v128, v128                               // 000000008444: 7F000B80
	v_cvt_f32_i32_e32 v129, v129                               // 000000008448: 7F020B81
	v_cvt_f32_i32_e32 v130, v130                               // 00000000844C: 7F040B82
	v_cvt_f32_i32_e32 v131, v131                               // 000000008450: 7F060B83
	v_mul_f32_e32 v128, v14, v128                              // 000000008454: 0B01010E
	v_mul_f32_e32 v129, v14, v129                              // 000000008458: 0B03030E
	v_mul_f32_e32 v130, v14, v130                              // 00000000845C: 0B05050E
	v_mul_f32_e32 v131, v14, v131                              // 000000008460: 0B07070E
	v_mul_f32_dpp v128, v16, v128 row_newbcast:0 row_mask:0xf bank_mask:0xf// 000000008464: 0B0100FA FF015010
	v_mul_f32_dpp v129, v16, v129 row_newbcast:1 row_mask:0xf bank_mask:0xf// 00000000846C: 0B0302FA FF015110
	v_mul_f32_dpp v130, v16, v130 row_newbcast:2 row_mask:0xf bank_mask:0xf// 000000008474: 0B0504FA FF015210
	v_mul_f32_dpp v131, v16, v131 row_newbcast:3 row_mask:0xf bank_mask:0xf// 00000000847C: 0B0706FA FF015310
	v_cvt_f32_i32_e32 v132, v132                               // 000000008484: 7F080B84
	v_cvt_f32_i32_e32 v133, v133                               // 000000008488: 7F0A0B85
	v_cvt_f32_i32_e32 v134, v134                               // 00000000848C: 7F0C0B86
	v_cvt_f32_i32_e32 v135, v135                               // 000000008490: 7F0E0B87
	v_mul_f32_e32 v132, v15, v132                              // 000000008494: 0B09090F
	v_mul_f32_e32 v133, v15, v133                              // 000000008498: 0B0B0B0F
	v_mul_f32_e32 v134, v15, v134                              // 00000000849C: 0B0D0D0F
	v_mul_f32_e32 v135, v15, v135                              // 0000000084A0: 0B0F0F0F
	v_mul_f32_dpp v132, v16, v132 row_newbcast:0 row_mask:0xf bank_mask:0xf// 0000000084A4: 0B0908FA FF015010
	v_mul_f32_dpp v133, v16, v133 row_newbcast:1 row_mask:0xf bank_mask:0xf// 0000000084AC: 0B0B0AFA FF015110
	v_mul_f32_dpp v134, v16, v134 row_newbcast:2 row_mask:0xf bank_mask:0xf// 0000000084B4: 0B0D0CFA FF015210
	v_mul_f32_dpp v135, v16, v135 row_newbcast:3 row_mask:0xf bank_mask:0xf// 0000000084BC: 0B0F0EFA FF015310
	v_cvt_f32_i32_e32 v136, v136                               // 0000000084C4: 7F100B88
	v_cvt_f32_i32_e32 v137, v137                               // 0000000084C8: 7F120B89
	v_cvt_f32_i32_e32 v138, v138                               // 0000000084CC: 7F140B8A
	v_cvt_f32_i32_e32 v139, v139                               // 0000000084D0: 7F160B8B
	v_mul_f32_e32 v136, v14, v136                              // 0000000084D4: 0B11110E
	v_mul_f32_e32 v137, v14, v137                              // 0000000084D8: 0B13130E
	v_mul_f32_e32 v138, v14, v138                              // 0000000084DC: 0B15150E
	v_mul_f32_e32 v139, v14, v139                              // 0000000084E0: 0B17170E
	v_mul_f32_dpp v136, v16, v136 row_newbcast:4 row_mask:0xf bank_mask:0xf// 0000000084E4: 0B1110FA FF015410
	v_mul_f32_dpp v137, v16, v137 row_newbcast:5 row_mask:0xf bank_mask:0xf// 0000000084EC: 0B1312FA FF015510
	v_mul_f32_dpp v138, v16, v138 row_newbcast:6 row_mask:0xf bank_mask:0xf// 0000000084F4: 0B1514FA FF015610
	v_mul_f32_dpp v139, v16, v139 row_newbcast:7 row_mask:0xf bank_mask:0xf// 0000000084FC: 0B1716FA FF015710
	v_cvt_f32_i32_e32 v140, v140                               // 000000008504: 7F180B8C
	v_cvt_f32_i32_e32 v141, v141                               // 000000008508: 7F1A0B8D
	v_cvt_f32_i32_e32 v142, v142                               // 00000000850C: 7F1C0B8E
	v_cvt_f32_i32_e32 v143, v143                               // 000000008510: 7F1E0B8F
	v_mul_f32_e32 v140, v15, v140                              // 000000008514: 0B19190F
	v_mul_f32_e32 v141, v15, v141                              // 000000008518: 0B1B1B0F
	v_mul_f32_e32 v142, v15, v142                              // 00000000851C: 0B1D1D0F
	v_mul_f32_e32 v143, v15, v143                              // 000000008520: 0B1F1F0F
	v_mul_f32_dpp v140, v16, v140 row_newbcast:4 row_mask:0xf bank_mask:0xf// 000000008524: 0B1918FA FF015410
	v_mul_f32_dpp v141, v16, v141 row_newbcast:5 row_mask:0xf bank_mask:0xf// 00000000852C: 0B1B1AFA FF015510
	v_mul_f32_dpp v142, v16, v142 row_newbcast:6 row_mask:0xf bank_mask:0xf// 000000008534: 0B1D1CFA FF015610
	v_mul_f32_dpp v143, v16, v143 row_newbcast:7 row_mask:0xf bank_mask:0xf// 00000000853C: 0B1F1EFA FF015710
	v_cvt_f32_i32_e32 v144, v144                               // 000000008544: 7F200B90
	v_cvt_f32_i32_e32 v145, v145                               // 000000008548: 7F220B91
	v_cvt_f32_i32_e32 v146, v146                               // 00000000854C: 7F240B92
	v_cvt_f32_i32_e32 v147, v147                               // 000000008550: 7F260B93
	v_mul_f32_e32 v144, v14, v144                              // 000000008554: 0B21210E
	v_mul_f32_e32 v145, v14, v145                              // 000000008558: 0B23230E
	v_mul_f32_e32 v146, v14, v146                              // 00000000855C: 0B25250E
	v_mul_f32_e32 v147, v14, v147                              // 000000008560: 0B27270E
	v_mul_f32_dpp v144, v16, v144 row_newbcast:8 row_mask:0xf bank_mask:0xf// 000000008564: 0B2120FA FF015810
	v_mul_f32_dpp v145, v16, v145 row_newbcast:9 row_mask:0xf bank_mask:0xf// 00000000856C: 0B2322FA FF015910
	v_mul_f32_dpp v146, v16, v146 row_newbcast:10 row_mask:0xf bank_mask:0xf// 000000008574: 0B2524FA FF015A10
	v_mul_f32_dpp v147, v16, v147 row_newbcast:11 row_mask:0xf bank_mask:0xf// 00000000857C: 0B2726FA FF015B10
	v_cvt_f32_i32_e32 v148, v148                               // 000000008584: 7F280B94
	v_cvt_f32_i32_e32 v149, v149                               // 000000008588: 7F2A0B95
	v_cvt_f32_i32_e32 v150, v150                               // 00000000858C: 7F2C0B96
	v_cvt_f32_i32_e32 v151, v151                               // 000000008590: 7F2E0B97
	v_mul_f32_e32 v148, v15, v148                              // 000000008594: 0B29290F
	v_mul_f32_e32 v149, v15, v149                              // 000000008598: 0B2B2B0F
	v_mul_f32_e32 v150, v15, v150                              // 00000000859C: 0B2D2D0F
	v_mul_f32_e32 v151, v15, v151                              // 0000000085A0: 0B2F2F0F
	v_mul_f32_dpp v148, v16, v148 row_newbcast:8 row_mask:0xf bank_mask:0xf// 0000000085A4: 0B2928FA FF015810
	v_mul_f32_dpp v149, v16, v149 row_newbcast:9 row_mask:0xf bank_mask:0xf// 0000000085AC: 0B2B2AFA FF015910
	v_mul_f32_dpp v150, v16, v150 row_newbcast:10 row_mask:0xf bank_mask:0xf// 0000000085B4: 0B2D2CFA FF015A10
	v_mul_f32_dpp v151, v16, v151 row_newbcast:11 row_mask:0xf bank_mask:0xf// 0000000085BC: 0B2F2EFA FF015B10
	v_cvt_f32_i32_e32 v152, v152                               // 0000000085C4: 7F300B98
	v_cvt_f32_i32_e32 v153, v153                               // 0000000085C8: 7F320B99
	v_cvt_f32_i32_e32 v154, v154                               // 0000000085CC: 7F340B9A
	v_cvt_f32_i32_e32 v155, v155                               // 0000000085D0: 7F360B9B
	v_mul_f32_e32 v152, v14, v152                              // 0000000085D4: 0B31310E
	v_mul_f32_e32 v153, v14, v153                              // 0000000085D8: 0B33330E
	v_mul_f32_e32 v154, v14, v154                              // 0000000085DC: 0B35350E
	v_mul_f32_e32 v155, v14, v155                              // 0000000085E0: 0B37370E
	v_mul_f32_dpp v152, v16, v152 row_newbcast:12 row_mask:0xf bank_mask:0xf// 0000000085E4: 0B3130FA FF015C10
	v_mul_f32_dpp v153, v16, v153 row_newbcast:13 row_mask:0xf bank_mask:0xf// 0000000085EC: 0B3332FA FF015D10
	v_mul_f32_dpp v154, v16, v154 row_newbcast:14 row_mask:0xf bank_mask:0xf// 0000000085F4: 0B3534FA FF015E10
	v_mul_f32_dpp v155, v16, v155 row_newbcast:15 row_mask:0xf bank_mask:0xf// 0000000085FC: 0B3736FA FF015F10
	v_cvt_f32_i32_e32 v156, v156                               // 000000008604: 7F380B9C
	v_cvt_f32_i32_e32 v157, v157                               // 000000008608: 7F3A0B9D
	v_cvt_f32_i32_e32 v158, v158                               // 00000000860C: 7F3C0B9E
	v_cvt_f32_i32_e32 v159, v159                               // 000000008610: 7F3E0B9F
	v_mul_f32_e32 v156, v15, v156                              // 000000008614: 0B39390F
	v_mul_f32_e32 v157, v15, v157                              // 000000008618: 0B3B3B0F
	v_mul_f32_e32 v158, v15, v158                              // 00000000861C: 0B3D3D0F
	v_mul_f32_e32 v159, v15, v159                              // 000000008620: 0B3F3F0F
	v_mul_f32_dpp v156, v16, v156 row_newbcast:12 row_mask:0xf bank_mask:0xf// 000000008624: 0B3938FA FF015C10
	v_mul_f32_dpp v157, v16, v157 row_newbcast:13 row_mask:0xf bank_mask:0xf// 00000000862C: 0B3B3AFA FF015D10
	v_mul_f32_dpp v158, v16, v158 row_newbcast:14 row_mask:0xf bank_mask:0xf// 000000008634: 0B3D3CFA FF015E10
	v_mul_f32_dpp v159, v16, v159 row_newbcast:15 row_mask:0xf bank_mask:0xf// 00000000863C: 0B3F3EFA FF015F10
	v_cvt_f32_i32_e32 v160, v160                               // 000000008644: 7F400BA0
	v_cvt_f32_i32_e32 v161, v161                               // 000000008648: 7F420BA1
	v_cvt_f32_i32_e32 v162, v162                               // 00000000864C: 7F440BA2
	v_cvt_f32_i32_e32 v163, v163                               // 000000008650: 7F460BA3
	v_mul_f32_e32 v160, v14, v160                              // 000000008654: 0B41410E
	v_mul_f32_e32 v161, v14, v161                              // 000000008658: 0B43430E
	v_mul_f32_e32 v162, v14, v162                              // 00000000865C: 0B45450E
	v_mul_f32_e32 v163, v14, v163                              // 000000008660: 0B47470E
	v_mul_f32_dpp v160, v17, v160 row_newbcast:0 row_mask:0xf bank_mask:0xf// 000000008664: 0B4140FA FF015011
	v_mul_f32_dpp v161, v17, v161 row_newbcast:1 row_mask:0xf bank_mask:0xf// 00000000866C: 0B4342FA FF015111
	v_mul_f32_dpp v162, v17, v162 row_newbcast:2 row_mask:0xf bank_mask:0xf// 000000008674: 0B4544FA FF015211
	v_mul_f32_dpp v163, v17, v163 row_newbcast:3 row_mask:0xf bank_mask:0xf// 00000000867C: 0B4746FA FF015311
	v_cvt_f32_i32_e32 v164, v164                               // 000000008684: 7F480BA4
	v_cvt_f32_i32_e32 v165, v165                               // 000000008688: 7F4A0BA5
	v_cvt_f32_i32_e32 v166, v166                               // 00000000868C: 7F4C0BA6
	v_cvt_f32_i32_e32 v167, v167                               // 000000008690: 7F4E0BA7
	v_mul_f32_e32 v164, v15, v164                              // 000000008694: 0B49490F
	v_mul_f32_e32 v165, v15, v165                              // 000000008698: 0B4B4B0F
	v_mul_f32_e32 v166, v15, v166                              // 00000000869C: 0B4D4D0F
	v_mul_f32_e32 v167, v15, v167                              // 0000000086A0: 0B4F4F0F
	v_mul_f32_dpp v164, v17, v164 row_newbcast:0 row_mask:0xf bank_mask:0xf// 0000000086A4: 0B4948FA FF015011
	v_mul_f32_dpp v165, v17, v165 row_newbcast:1 row_mask:0xf bank_mask:0xf// 0000000086AC: 0B4B4AFA FF015111
	v_mul_f32_dpp v166, v17, v166 row_newbcast:2 row_mask:0xf bank_mask:0xf// 0000000086B4: 0B4D4CFA FF015211
	v_mul_f32_dpp v167, v17, v167 row_newbcast:3 row_mask:0xf bank_mask:0xf// 0000000086BC: 0B4F4EFA FF015311
	v_cvt_f32_i32_e32 v168, v168                               // 0000000086C4: 7F500BA8
	v_cvt_f32_i32_e32 v169, v169                               // 0000000086C8: 7F520BA9
	v_cvt_f32_i32_e32 v170, v170                               // 0000000086CC: 7F540BAA
	v_cvt_f32_i32_e32 v171, v171                               // 0000000086D0: 7F560BAB
	v_mul_f32_e32 v168, v14, v168                              // 0000000086D4: 0B51510E
	v_mul_f32_e32 v169, v14, v169                              // 0000000086D8: 0B53530E
	v_mul_f32_e32 v170, v14, v170                              // 0000000086DC: 0B55550E
	v_mul_f32_e32 v171, v14, v171                              // 0000000086E0: 0B57570E
	v_mul_f32_dpp v168, v17, v168 row_newbcast:4 row_mask:0xf bank_mask:0xf// 0000000086E4: 0B5150FA FF015411
	v_mul_f32_dpp v169, v17, v169 row_newbcast:5 row_mask:0xf bank_mask:0xf// 0000000086EC: 0B5352FA FF015511
	v_mul_f32_dpp v170, v17, v170 row_newbcast:6 row_mask:0xf bank_mask:0xf// 0000000086F4: 0B5554FA FF015611
	v_mul_f32_dpp v171, v17, v171 row_newbcast:7 row_mask:0xf bank_mask:0xf// 0000000086FC: 0B5756FA FF015711
	v_cvt_f32_i32_e32 v172, v172                               // 000000008704: 7F580BAC
	v_cvt_f32_i32_e32 v173, v173                               // 000000008708: 7F5A0BAD
	v_cvt_f32_i32_e32 v174, v174                               // 00000000870C: 7F5C0BAE
	v_cvt_f32_i32_e32 v175, v175                               // 000000008710: 7F5E0BAF
	v_mul_f32_e32 v172, v15, v172                              // 000000008714: 0B59590F
	v_mul_f32_e32 v173, v15, v173                              // 000000008718: 0B5B5B0F
	v_mul_f32_e32 v174, v15, v174                              // 00000000871C: 0B5D5D0F
	v_mul_f32_e32 v175, v15, v175                              // 000000008720: 0B5F5F0F
	v_mul_f32_dpp v172, v17, v172 row_newbcast:4 row_mask:0xf bank_mask:0xf// 000000008724: 0B5958FA FF015411
	v_mul_f32_dpp v173, v17, v173 row_newbcast:5 row_mask:0xf bank_mask:0xf// 00000000872C: 0B5B5AFA FF015511
	v_mul_f32_dpp v174, v17, v174 row_newbcast:6 row_mask:0xf bank_mask:0xf// 000000008734: 0B5D5CFA FF015611
	v_mul_f32_dpp v175, v17, v175 row_newbcast:7 row_mask:0xf bank_mask:0xf// 00000000873C: 0B5F5EFA FF015711
	v_cvt_f32_i32_e32 v176, v176                               // 000000008744: 7F600BB0
	v_cvt_f32_i32_e32 v177, v177                               // 000000008748: 7F620BB1
	v_cvt_f32_i32_e32 v178, v178                               // 00000000874C: 7F640BB2
	v_cvt_f32_i32_e32 v179, v179                               // 000000008750: 7F660BB3
	v_mul_f32_e32 v176, v14, v176                              // 000000008754: 0B61610E
	v_mul_f32_e32 v177, v14, v177                              // 000000008758: 0B63630E
	v_mul_f32_e32 v178, v14, v178                              // 00000000875C: 0B65650E
	v_mul_f32_e32 v179, v14, v179                              // 000000008760: 0B67670E
	v_mul_f32_dpp v176, v17, v176 row_newbcast:8 row_mask:0xf bank_mask:0xf// 000000008764: 0B6160FA FF015811
	v_mul_f32_dpp v177, v17, v177 row_newbcast:9 row_mask:0xf bank_mask:0xf// 00000000876C: 0B6362FA FF015911
	v_mul_f32_dpp v178, v17, v178 row_newbcast:10 row_mask:0xf bank_mask:0xf// 000000008774: 0B6564FA FF015A11
	v_mul_f32_dpp v179, v17, v179 row_newbcast:11 row_mask:0xf bank_mask:0xf// 00000000877C: 0B6766FA FF015B11
	v_cvt_f32_i32_e32 v180, v180                               // 000000008784: 7F680BB4
	v_cvt_f32_i32_e32 v181, v181                               // 000000008788: 7F6A0BB5
	v_cvt_f32_i32_e32 v182, v182                               // 00000000878C: 7F6C0BB6
	v_cvt_f32_i32_e32 v183, v183                               // 000000008790: 7F6E0BB7
	v_mul_f32_e32 v180, v15, v180                              // 000000008794: 0B69690F
	v_mul_f32_e32 v181, v15, v181                              // 000000008798: 0B6B6B0F
	v_mul_f32_e32 v182, v15, v182                              // 00000000879C: 0B6D6D0F
	v_mul_f32_e32 v183, v15, v183                              // 0000000087A0: 0B6F6F0F
	v_mul_f32_dpp v180, v17, v180 row_newbcast:8 row_mask:0xf bank_mask:0xf// 0000000087A4: 0B6968FA FF015811
	v_mul_f32_dpp v181, v17, v181 row_newbcast:9 row_mask:0xf bank_mask:0xf// 0000000087AC: 0B6B6AFA FF015911
	v_mul_f32_dpp v182, v17, v182 row_newbcast:10 row_mask:0xf bank_mask:0xf// 0000000087B4: 0B6D6CFA FF015A11
	v_mul_f32_dpp v183, v17, v183 row_newbcast:11 row_mask:0xf bank_mask:0xf// 0000000087BC: 0B6F6EFA FF015B11
	v_cvt_f32_i32_e32 v184, v184                               // 0000000087C4: 7F700BB8
	v_cvt_f32_i32_e32 v185, v185                               // 0000000087C8: 7F720BB9
	v_cvt_f32_i32_e32 v186, v186                               // 0000000087CC: 7F740BBA
	v_cvt_f32_i32_e32 v187, v187                               // 0000000087D0: 7F760BBB
	v_mul_f32_e32 v184, v14, v184                              // 0000000087D4: 0B71710E
	v_mul_f32_e32 v185, v14, v185                              // 0000000087D8: 0B73730E
	v_mul_f32_e32 v186, v14, v186                              // 0000000087DC: 0B75750E
	v_mul_f32_e32 v187, v14, v187                              // 0000000087E0: 0B77770E
	v_mul_f32_dpp v184, v17, v184 row_newbcast:12 row_mask:0xf bank_mask:0xf// 0000000087E4: 0B7170FA FF015C11
	v_mul_f32_dpp v185, v17, v185 row_newbcast:13 row_mask:0xf bank_mask:0xf// 0000000087EC: 0B7372FA FF015D11
	v_mul_f32_dpp v186, v17, v186 row_newbcast:14 row_mask:0xf bank_mask:0xf// 0000000087F4: 0B7574FA FF015E11
	v_mul_f32_dpp v187, v17, v187 row_newbcast:15 row_mask:0xf bank_mask:0xf// 0000000087FC: 0B7776FA FF015F11
	v_cvt_f32_i32_e32 v188, v188                               // 000000008804: 7F780BBC
	v_cvt_f32_i32_e32 v189, v189                               // 000000008808: 7F7A0BBD
	v_cvt_f32_i32_e32 v190, v190                               // 00000000880C: 7F7C0BBE
	v_cvt_f32_i32_e32 v191, v191                               // 000000008810: 7F7E0BBF
	v_mul_f32_e32 v188, v15, v188                              // 000000008814: 0B79790F
	v_mul_f32_e32 v189, v15, v189                              // 000000008818: 0B7B7B0F
	v_mul_f32_e32 v190, v15, v190                              // 00000000881C: 0B7D7D0F
	v_mul_f32_e32 v191, v15, v191                              // 000000008820: 0B7F7F0F
	v_mul_f32_dpp v188, v17, v188 row_newbcast:12 row_mask:0xf bank_mask:0xf// 000000008824: 0B7978FA FF015C11
	v_mul_f32_dpp v189, v17, v189 row_newbcast:13 row_mask:0xf bank_mask:0xf// 00000000882C: 0B7B7AFA FF015D11
	v_mul_f32_dpp v190, v17, v190 row_newbcast:14 row_mask:0xf bank_mask:0xf// 000000008834: 0B7D7CFA FF015E11
	v_mul_f32_dpp v191, v17, v191 row_newbcast:15 row_mask:0xf bank_mask:0xf// 00000000883C: 0B7F7EFA FF015F11
	s_waitcnt vmcnt(24)                                        // 000000008844: BF8C4F78
	buffer_load_dwordx4 a[0:3], v42, s[12:15], 0 offen         // 000000008848: E05C1000 8083002A
	v_mul_f32_e64 v54, -v128, s6                               // 000000008850: D1050036 20000D80
	v_mul_f32_e64 v55, -v129, s6                               // 000000008858: D1050037 20000D81
	v_mul_f32_e64 v56, -v130, s6                               // 000000008860: D1050038 20000D82
	v_mul_f32_e64 v57, -v131, s6                               // 000000008868: D1050039 20000D83
	v_exp_f32_e32 v54, v54                                     // 000000008870: 7E6C4136
	v_exp_f32_e32 v55, v55                                     // 000000008874: 7E6E4137
	v_exp_f32_e32 v56, v56                                     // 000000008878: 7E704138
	v_exp_f32_e32 v57, v57                                     // 00000000887C: 7E724139
	buffer_load_dwordx4 a[4:7], v42, s[12:15], 0 offen offset:1024// 000000008880: E05C1400 8083042A
	v_add_f32_e64 v54, v54, 1.0                                // 000000008888: D1010036 0001E536
	v_add_f32_e64 v55, v55, 1.0                                // 000000008890: D1010037 0001E537
	v_add_f32_e64 v56, v56, 1.0                                // 000000008898: D1010038 0001E538
	v_add_f32_e64 v57, v57, 1.0                                // 0000000088A0: D1010039 0001E539
	v_rcp_f32_e32 v54, v54                                     // 0000000088A8: 7E6C4536
	v_rcp_f32_e32 v55, v55                                     // 0000000088AC: 7E6E4537
	v_rcp_f32_e32 v56, v56                                     // 0000000088B0: 7E704538
	v_rcp_f32_e32 v57, v57                                     // 0000000088B4: 7E724539
	v_pk_mul_f32 v[128:129], v[128:129], v[54:55]              // 0000000088B8: D3B14080 18026D80
	v_pk_mul_f32 v[130:131], v[130:131], v[56:57]              // 0000000088C0: D3B14082 18027182
	buffer_load_dwordx4 a[8:11], v42, s[12:15], 0 offen offset:2048// 0000000088C8: E05C1800 8083082A
	v_mul_f32_e64 v54, -v132, s6                               // 0000000088D0: D1050036 20000D84
	v_mul_f32_e64 v55, -v133, s6                               // 0000000088D8: D1050037 20000D85
	v_mul_f32_e64 v56, -v134, s6                               // 0000000088E0: D1050038 20000D86
	v_mul_f32_e64 v57, -v135, s6                               // 0000000088E8: D1050039 20000D87
	v_exp_f32_e32 v54, v54                                     // 0000000088F0: 7E6C4136
	v_exp_f32_e32 v55, v55                                     // 0000000088F4: 7E6E4137
	v_exp_f32_e32 v56, v56                                     // 0000000088F8: 7E704138
	v_exp_f32_e32 v57, v57                                     // 0000000088FC: 7E724139
	buffer_load_dwordx4 a[12:15], v42, s[12:15], 0 offen offset:3072// 000000008900: E05C1C00 80830C2A
	v_add_f32_e64 v54, v54, 1.0                                // 000000008908: D1010036 0001E536
	v_add_f32_e64 v55, v55, 1.0                                // 000000008910: D1010037 0001E537
	v_add_f32_e64 v56, v56, 1.0                                // 000000008918: D1010038 0001E538
	v_add_f32_e64 v57, v57, 1.0                                // 000000008920: D1010039 0001E539
	v_rcp_f32_e32 v54, v54                                     // 000000008928: 7E6C4536
	v_rcp_f32_e32 v55, v55                                     // 00000000892C: 7E6E4537
	v_rcp_f32_e32 v56, v56                                     // 000000008930: 7E704538
	v_rcp_f32_e32 v57, v57                                     // 000000008934: 7E724539
	v_pk_mul_f32 v[132:133], v[132:133], v[54:55]              // 000000008938: D3B14084 18026D84
	v_pk_mul_f32 v[134:135], v[134:135], v[56:57]              // 000000008940: D3B14086 18027186
	buffer_load_dwordx4 a[16:19], v43, s[12:15], 0 offen       // 000000008948: E05C1000 8083102B
	v_mul_f32_e64 v54, -v136, s6                               // 000000008950: D1050036 20000D88
	v_mul_f32_e64 v55, -v137, s6                               // 000000008958: D1050037 20000D89
	v_mul_f32_e64 v56, -v138, s6                               // 000000008960: D1050038 20000D8A
	v_mul_f32_e64 v57, -v139, s6                               // 000000008968: D1050039 20000D8B
	v_exp_f32_e32 v54, v54                                     // 000000008970: 7E6C4136
	v_exp_f32_e32 v55, v55                                     // 000000008974: 7E6E4137
	v_exp_f32_e32 v56, v56                                     // 000000008978: 7E704138
	v_exp_f32_e32 v57, v57                                     // 00000000897C: 7E724139
	buffer_load_dwordx4 a[20:23], v43, s[12:15], 0 offen offset:1024// 000000008980: E05C1400 8083142B
	v_add_f32_e64 v54, v54, 1.0                                // 000000008988: D1010036 0001E536
	v_add_f32_e64 v55, v55, 1.0                                // 000000008990: D1010037 0001E537
	v_add_f32_e64 v56, v56, 1.0                                // 000000008998: D1010038 0001E538
	v_add_f32_e64 v57, v57, 1.0                                // 0000000089A0: D1010039 0001E539
	v_rcp_f32_e32 v54, v54                                     // 0000000089A8: 7E6C4536
	v_rcp_f32_e32 v55, v55                                     // 0000000089AC: 7E6E4537
	v_rcp_f32_e32 v56, v56                                     // 0000000089B0: 7E704538
	v_rcp_f32_e32 v57, v57                                     // 0000000089B4: 7E724539
	v_pk_mul_f32 v[136:137], v[136:137], v[54:55]              // 0000000089B8: D3B14088 18026D88
	v_pk_mul_f32 v[138:139], v[138:139], v[56:57]              // 0000000089C0: D3B1408A 1802718A
	buffer_load_dwordx4 a[24:27], v43, s[12:15], 0 offen offset:2048// 0000000089C8: E05C1800 8083182B
	v_mul_f32_e64 v54, -v140, s6                               // 0000000089D0: D1050036 20000D8C
	v_mul_f32_e64 v55, -v141, s6                               // 0000000089D8: D1050037 20000D8D
	v_mul_f32_e64 v56, -v142, s6                               // 0000000089E0: D1050038 20000D8E
	v_mul_f32_e64 v57, -v143, s6                               // 0000000089E8: D1050039 20000D8F
	v_exp_f32_e32 v54, v54                                     // 0000000089F0: 7E6C4136
	v_exp_f32_e32 v55, v55                                     // 0000000089F4: 7E6E4137
	v_exp_f32_e32 v56, v56                                     // 0000000089F8: 7E704138
	v_exp_f32_e32 v57, v57                                     // 0000000089FC: 7E724139
	buffer_load_dwordx4 a[28:31], v43, s[12:15], 0 offen offset:3072// 000000008A00: E05C1C00 80831C2B
	v_add_f32_e64 v54, v54, 1.0                                // 000000008A08: D1010036 0001E536
	v_add_f32_e64 v55, v55, 1.0                                // 000000008A10: D1010037 0001E537
	v_add_f32_e64 v56, v56, 1.0                                // 000000008A18: D1010038 0001E538
	v_add_f32_e64 v57, v57, 1.0                                // 000000008A20: D1010039 0001E539
	v_rcp_f32_e32 v54, v54                                     // 000000008A28: 7E6C4536
	v_rcp_f32_e32 v55, v55                                     // 000000008A2C: 7E6E4537
	v_rcp_f32_e32 v56, v56                                     // 000000008A30: 7E704538
	v_rcp_f32_e32 v57, v57                                     // 000000008A34: 7E724539
	v_pk_mul_f32 v[140:141], v[140:141], v[54:55]              // 000000008A38: D3B1408C 18026D8C
	v_pk_mul_f32 v[142:143], v[142:143], v[56:57]              // 000000008A40: D3B1408E 1802718E
	s_waitcnt vmcnt(24)                                        // 000000008A48: BF8C4F78
	buffer_load_dwordx4 a[32:35], v44, s[12:15], 0 offen       // 000000008A4C: E05C1000 8083202C
	v_mul_f32_e64 v54, -v144, s6                               // 000000008A54: D1050036 20000D90
	v_mul_f32_e64 v55, -v145, s6                               // 000000008A5C: D1050037 20000D91
	v_mul_f32_e64 v56, -v146, s6                               // 000000008A64: D1050038 20000D92
	v_mul_f32_e64 v57, -v147, s6                               // 000000008A6C: D1050039 20000D93
	v_exp_f32_e32 v54, v54                                     // 000000008A74: 7E6C4136
	v_exp_f32_e32 v55, v55                                     // 000000008A78: 7E6E4137
	v_exp_f32_e32 v56, v56                                     // 000000008A7C: 7E704138
	v_exp_f32_e32 v57, v57                                     // 000000008A80: 7E724139
	buffer_load_dwordx4 a[36:39], v44, s[12:15], 0 offen offset:1024// 000000008A84: E05C1400 8083242C
	v_add_f32_e64 v54, v54, 1.0                                // 000000008A8C: D1010036 0001E536
	v_add_f32_e64 v55, v55, 1.0                                // 000000008A94: D1010037 0001E537
	v_add_f32_e64 v56, v56, 1.0                                // 000000008A9C: D1010038 0001E538
	v_add_f32_e64 v57, v57, 1.0                                // 000000008AA4: D1010039 0001E539
	v_rcp_f32_e32 v54, v54                                     // 000000008AAC: 7E6C4536
	v_rcp_f32_e32 v55, v55                                     // 000000008AB0: 7E6E4537
	v_rcp_f32_e32 v56, v56                                     // 000000008AB4: 7E704538
	v_rcp_f32_e32 v57, v57                                     // 000000008AB8: 7E724539
	v_pk_mul_f32 v[144:145], v[144:145], v[54:55]              // 000000008ABC: D3B14090 18026D90
	v_pk_mul_f32 v[146:147], v[146:147], v[56:57]              // 000000008AC4: D3B14092 18027192
	buffer_load_dwordx4 a[40:43], v44, s[12:15], 0 offen offset:2048// 000000008ACC: E05C1800 8083282C
	v_mul_f32_e64 v54, -v148, s6                               // 000000008AD4: D1050036 20000D94
	v_mul_f32_e64 v55, -v149, s6                               // 000000008ADC: D1050037 20000D95
	v_mul_f32_e64 v56, -v150, s6                               // 000000008AE4: D1050038 20000D96
	v_mul_f32_e64 v57, -v151, s6                               // 000000008AEC: D1050039 20000D97
	v_exp_f32_e32 v54, v54                                     // 000000008AF4: 7E6C4136
	v_exp_f32_e32 v55, v55                                     // 000000008AF8: 7E6E4137
	v_exp_f32_e32 v56, v56                                     // 000000008AFC: 7E704138
	v_exp_f32_e32 v57, v57                                     // 000000008B00: 7E724139
	buffer_load_dwordx4 a[44:47], v44, s[12:15], 0 offen offset:3072// 000000008B04: E05C1C00 80832C2C
	v_add_f32_e64 v54, v54, 1.0                                // 000000008B0C: D1010036 0001E536
	v_add_f32_e64 v55, v55, 1.0                                // 000000008B14: D1010037 0001E537
	v_add_f32_e64 v56, v56, 1.0                                // 000000008B1C: D1010038 0001E538
	v_add_f32_e64 v57, v57, 1.0                                // 000000008B24: D1010039 0001E539
	v_rcp_f32_e32 v54, v54                                     // 000000008B2C: 7E6C4536
	v_rcp_f32_e32 v55, v55                                     // 000000008B30: 7E6E4537
	v_rcp_f32_e32 v56, v56                                     // 000000008B34: 7E704538
	v_rcp_f32_e32 v57, v57                                     // 000000008B38: 7E724539
	v_pk_mul_f32 v[148:149], v[148:149], v[54:55]              // 000000008B3C: D3B14094 18026D94
	v_pk_mul_f32 v[150:151], v[150:151], v[56:57]              // 000000008B44: D3B14096 18027196
	buffer_load_dwordx4 a[48:51], v45, s[12:15], 0 offen       // 000000008B4C: E05C1000 8083302D
	v_mul_f32_e64 v54, -v152, s6                               // 000000008B54: D1050036 20000D98
	v_mul_f32_e64 v55, -v153, s6                               // 000000008B5C: D1050037 20000D99
	v_mul_f32_e64 v56, -v154, s6                               // 000000008B64: D1050038 20000D9A
	v_mul_f32_e64 v57, -v155, s6                               // 000000008B6C: D1050039 20000D9B
	v_exp_f32_e32 v54, v54                                     // 000000008B74: 7E6C4136
	v_exp_f32_e32 v55, v55                                     // 000000008B78: 7E6E4137
	v_exp_f32_e32 v56, v56                                     // 000000008B7C: 7E704138
	v_exp_f32_e32 v57, v57                                     // 000000008B80: 7E724139
	buffer_load_dwordx4 a[52:55], v45, s[12:15], 0 offen offset:1024// 000000008B84: E05C1400 8083342D
	v_add_f32_e64 v54, v54, 1.0                                // 000000008B8C: D1010036 0001E536
	v_add_f32_e64 v55, v55, 1.0                                // 000000008B94: D1010037 0001E537
	v_add_f32_e64 v56, v56, 1.0                                // 000000008B9C: D1010038 0001E538
	v_add_f32_e64 v57, v57, 1.0                                // 000000008BA4: D1010039 0001E539
	v_rcp_f32_e32 v54, v54                                     // 000000008BAC: 7E6C4536
	v_rcp_f32_e32 v55, v55                                     // 000000008BB0: 7E6E4537
	v_rcp_f32_e32 v56, v56                                     // 000000008BB4: 7E704538
	v_rcp_f32_e32 v57, v57                                     // 000000008BB8: 7E724539
	v_pk_mul_f32 v[152:153], v[152:153], v[54:55]              // 000000008BBC: D3B14098 18026D98
	v_pk_mul_f32 v[154:155], v[154:155], v[56:57]              // 000000008BC4: D3B1409A 1802719A
	buffer_load_dwordx4 a[56:59], v45, s[12:15], 0 offen offset:2048// 000000008BCC: E05C1800 8083382D
	v_mul_f32_e64 v54, -v156, s6                               // 000000008BD4: D1050036 20000D9C
	v_mul_f32_e64 v55, -v157, s6                               // 000000008BDC: D1050037 20000D9D
	v_mul_f32_e64 v56, -v158, s6                               // 000000008BE4: D1050038 20000D9E
	v_mul_f32_e64 v57, -v159, s6                               // 000000008BEC: D1050039 20000D9F
	v_exp_f32_e32 v54, v54                                     // 000000008BF4: 7E6C4136
	v_exp_f32_e32 v55, v55                                     // 000000008BF8: 7E6E4137
	v_exp_f32_e32 v56, v56                                     // 000000008BFC: 7E704138
	v_exp_f32_e32 v57, v57                                     // 000000008C00: 7E724139
	buffer_load_dwordx4 a[60:63], v45, s[12:15], 0 offen offset:3072// 000000008C04: E05C1C00 80833C2D
	s_add_u32 s12, s78, s12                                    // 000000008C0C: 800C0C4E
	s_addc_u32 s13, 0, s13                                     // 000000008C10: 820D0D80
	v_add_f32_e64 v54, v54, 1.0                                // 000000008C14: D1010036 0001E536
	v_add_f32_e64 v55, v55, 1.0                                // 000000008C1C: D1010037 0001E537
	v_add_f32_e64 v56, v56, 1.0                                // 000000008C24: D1010038 0001E538
	v_add_f32_e64 v57, v57, 1.0                                // 000000008C2C: D1010039 0001E539
	v_rcp_f32_e32 v54, v54                                     // 000000008C34: 7E6C4536
	v_rcp_f32_e32 v55, v55                                     // 000000008C38: 7E6E4537
	v_rcp_f32_e32 v56, v56                                     // 000000008C3C: 7E704538
	v_rcp_f32_e32 v57, v57                                     // 000000008C40: 7E724539
	v_pk_mul_f32 v[156:157], v[156:157], v[54:55]              // 000000008C44: D3B1409C 18026D9C
	v_pk_mul_f32 v[158:159], v[158:159], v[56:57]              // 000000008C4C: D3B1409E 1802719E
	s_waitcnt vmcnt(24)                                        // 000000008C54: BF8C4F78
	buffer_load_dwordx4 a[64:67], v42, s[12:15], 0 offen       // 000000008C58: E05C1000 8083402A
	v_mul_f32_e64 v54, -v160, s6                               // 000000008C60: D1050036 20000DA0
	v_mul_f32_e64 v55, -v161, s6                               // 000000008C68: D1050037 20000DA1
	v_mul_f32_e64 v56, -v162, s6                               // 000000008C70: D1050038 20000DA2
	v_mul_f32_e64 v57, -v163, s6                               // 000000008C78: D1050039 20000DA3
	v_exp_f32_e32 v54, v54                                     // 000000008C80: 7E6C4136
	v_exp_f32_e32 v55, v55                                     // 000000008C84: 7E6E4137
	v_exp_f32_e32 v56, v56                                     // 000000008C88: 7E704138
	v_exp_f32_e32 v57, v57                                     // 000000008C8C: 7E724139
	buffer_load_dwordx4 a[68:71], v42, s[12:15], 0 offen offset:1024// 000000008C90: E05C1400 8083442A
	v_add_f32_e64 v54, v54, 1.0                                // 000000008C98: D1010036 0001E536
	v_add_f32_e64 v55, v55, 1.0                                // 000000008CA0: D1010037 0001E537
	v_add_f32_e64 v56, v56, 1.0                                // 000000008CA8: D1010038 0001E538
	v_add_f32_e64 v57, v57, 1.0                                // 000000008CB0: D1010039 0001E539
	v_rcp_f32_e32 v54, v54                                     // 000000008CB8: 7E6C4536
	v_rcp_f32_e32 v55, v55                                     // 000000008CBC: 7E6E4537
	v_rcp_f32_e32 v56, v56                                     // 000000008CC0: 7E704538
	v_rcp_f32_e32 v57, v57                                     // 000000008CC4: 7E724539
	v_pk_mul_f32 v[160:161], v[160:161], v[54:55]              // 000000008CC8: D3B140A0 18026DA0
	v_pk_mul_f32 v[162:163], v[162:163], v[56:57]              // 000000008CD0: D3B140A2 180271A2
	buffer_load_dwordx4 a[72:75], v42, s[12:15], 0 offen offset:2048// 000000008CD8: E05C1800 8083482A
	v_mul_f32_e64 v54, -v164, s6                               // 000000008CE0: D1050036 20000DA4
	v_mul_f32_e64 v55, -v165, s6                               // 000000008CE8: D1050037 20000DA5
	v_mul_f32_e64 v56, -v166, s6                               // 000000008CF0: D1050038 20000DA6
	v_mul_f32_e64 v57, -v167, s6                               // 000000008CF8: D1050039 20000DA7
	v_exp_f32_e32 v54, v54                                     // 000000008D00: 7E6C4136
	v_exp_f32_e32 v55, v55                                     // 000000008D04: 7E6E4137
	v_exp_f32_e32 v56, v56                                     // 000000008D08: 7E704138
	v_exp_f32_e32 v57, v57                                     // 000000008D0C: 7E724139
	buffer_load_dwordx4 a[76:79], v42, s[12:15], 0 offen offset:3072// 000000008D10: E05C1C00 80834C2A
	v_add_f32_e64 v54, v54, 1.0                                // 000000008D18: D1010036 0001E536
	v_add_f32_e64 v55, v55, 1.0                                // 000000008D20: D1010037 0001E537
	v_add_f32_e64 v56, v56, 1.0                                // 000000008D28: D1010038 0001E538
	v_add_f32_e64 v57, v57, 1.0                                // 000000008D30: D1010039 0001E539
	v_rcp_f32_e32 v54, v54                                     // 000000008D38: 7E6C4536
	v_rcp_f32_e32 v55, v55                                     // 000000008D3C: 7E6E4537
	v_rcp_f32_e32 v56, v56                                     // 000000008D40: 7E704538
	v_rcp_f32_e32 v57, v57                                     // 000000008D44: 7E724539
	v_pk_mul_f32 v[164:165], v[164:165], v[54:55]              // 000000008D48: D3B140A4 18026DA4
	v_pk_mul_f32 v[166:167], v[166:167], v[56:57]              // 000000008D50: D3B140A6 180271A6
	buffer_load_dwordx4 a[80:83], v43, s[12:15], 0 offen       // 000000008D58: E05C1000 8083502B
	v_mul_f32_e64 v54, -v168, s6                               // 000000008D60: D1050036 20000DA8
	v_mul_f32_e64 v55, -v169, s6                               // 000000008D68: D1050037 20000DA9
	v_mul_f32_e64 v56, -v170, s6                               // 000000008D70: D1050038 20000DAA
	v_mul_f32_e64 v57, -v171, s6                               // 000000008D78: D1050039 20000DAB
	v_exp_f32_e32 v54, v54                                     // 000000008D80: 7E6C4136
	v_exp_f32_e32 v55, v55                                     // 000000008D84: 7E6E4137
	v_exp_f32_e32 v56, v56                                     // 000000008D88: 7E704138
	v_exp_f32_e32 v57, v57                                     // 000000008D8C: 7E724139
	buffer_load_dwordx4 a[84:87], v43, s[12:15], 0 offen offset:1024// 000000008D90: E05C1400 8083542B
	v_add_f32_e64 v54, v54, 1.0                                // 000000008D98: D1010036 0001E536
	v_add_f32_e64 v55, v55, 1.0                                // 000000008DA0: D1010037 0001E537
	v_add_f32_e64 v56, v56, 1.0                                // 000000008DA8: D1010038 0001E538
	v_add_f32_e64 v57, v57, 1.0                                // 000000008DB0: D1010039 0001E539
	v_rcp_f32_e32 v54, v54                                     // 000000008DB8: 7E6C4536
	v_rcp_f32_e32 v55, v55                                     // 000000008DBC: 7E6E4537
	v_rcp_f32_e32 v56, v56                                     // 000000008DC0: 7E704538
	v_rcp_f32_e32 v57, v57                                     // 000000008DC4: 7E724539
	v_pk_mul_f32 v[168:169], v[168:169], v[54:55]              // 000000008DC8: D3B140A8 18026DA8
	v_pk_mul_f32 v[170:171], v[170:171], v[56:57]              // 000000008DD0: D3B140AA 180271AA
	buffer_load_dwordx4 a[88:91], v43, s[12:15], 0 offen offset:2048// 000000008DD8: E05C1800 8083582B
	v_mul_f32_e64 v54, -v172, s6                               // 000000008DE0: D1050036 20000DAC
	v_mul_f32_e64 v55, -v173, s6                               // 000000008DE8: D1050037 20000DAD
	v_mul_f32_e64 v56, -v174, s6                               // 000000008DF0: D1050038 20000DAE
	v_mul_f32_e64 v57, -v175, s6                               // 000000008DF8: D1050039 20000DAF
	v_exp_f32_e32 v54, v54                                     // 000000008E00: 7E6C4136
	v_exp_f32_e32 v55, v55                                     // 000000008E04: 7E6E4137
	v_exp_f32_e32 v56, v56                                     // 000000008E08: 7E704138
	v_exp_f32_e32 v57, v57                                     // 000000008E0C: 7E724139
	buffer_load_dwordx4 a[92:95], v43, s[12:15], 0 offen offset:3072// 000000008E10: E05C1C00 80835C2B
	v_add_f32_e64 v54, v54, 1.0                                // 000000008E18: D1010036 0001E536
	v_add_f32_e64 v55, v55, 1.0                                // 000000008E20: D1010037 0001E537
	v_add_f32_e64 v56, v56, 1.0                                // 000000008E28: D1010038 0001E538
	v_add_f32_e64 v57, v57, 1.0                                // 000000008E30: D1010039 0001E539
	v_rcp_f32_e32 v54, v54                                     // 000000008E38: 7E6C4536
	v_rcp_f32_e32 v55, v55                                     // 000000008E3C: 7E6E4537
	v_rcp_f32_e32 v56, v56                                     // 000000008E40: 7E704538
	v_rcp_f32_e32 v57, v57                                     // 000000008E44: 7E724539
	v_pk_mul_f32 v[172:173], v[172:173], v[54:55]              // 000000008E48: D3B140AC 18026DAC
	v_pk_mul_f32 v[174:175], v[174:175], v[56:57]              // 000000008E50: D3B140AE 180271AE
	s_waitcnt vmcnt(24)                                        // 000000008E58: BF8C4F78
	buffer_load_dwordx4 a[96:99], v44, s[12:15], 0 offen       // 000000008E5C: E05C1000 8083602C
	v_mul_f32_e64 v54, -v176, s6                               // 000000008E64: D1050036 20000DB0
	v_mul_f32_e64 v55, -v177, s6                               // 000000008E6C: D1050037 20000DB1
	v_mul_f32_e64 v56, -v178, s6                               // 000000008E74: D1050038 20000DB2
	v_mul_f32_e64 v57, -v179, s6                               // 000000008E7C: D1050039 20000DB3
	v_exp_f32_e32 v54, v54                                     // 000000008E84: 7E6C4136
	v_exp_f32_e32 v55, v55                                     // 000000008E88: 7E6E4137
	v_exp_f32_e32 v56, v56                                     // 000000008E8C: 7E704138
	v_exp_f32_e32 v57, v57                                     // 000000008E90: 7E724139
	buffer_load_dwordx4 a[100:103], v44, s[12:15], 0 offen offset:1024// 000000008E94: E05C1400 8083642C
	v_add_f32_e64 v54, v54, 1.0                                // 000000008E9C: D1010036 0001E536
	v_add_f32_e64 v55, v55, 1.0                                // 000000008EA4: D1010037 0001E537
	v_add_f32_e64 v56, v56, 1.0                                // 000000008EAC: D1010038 0001E538
	v_add_f32_e64 v57, v57, 1.0                                // 000000008EB4: D1010039 0001E539
	v_rcp_f32_e32 v54, v54                                     // 000000008EBC: 7E6C4536
	v_rcp_f32_e32 v55, v55                                     // 000000008EC0: 7E6E4537
	v_rcp_f32_e32 v56, v56                                     // 000000008EC4: 7E704538
	v_rcp_f32_e32 v57, v57                                     // 000000008EC8: 7E724539
	v_pk_mul_f32 v[176:177], v[176:177], v[54:55]              // 000000008ECC: D3B140B0 18026DB0
	v_pk_mul_f32 v[178:179], v[178:179], v[56:57]              // 000000008ED4: D3B140B2 180271B2
	buffer_load_dwordx4 a[104:107], v44, s[12:15], 0 offen offset:2048// 000000008EDC: E05C1800 8083682C
	v_mul_f32_e64 v54, -v180, s6                               // 000000008EE4: D1050036 20000DB4
	v_mul_f32_e64 v55, -v181, s6                               // 000000008EEC: D1050037 20000DB5
	v_mul_f32_e64 v56, -v182, s6                               // 000000008EF4: D1050038 20000DB6
	v_mul_f32_e64 v57, -v183, s6                               // 000000008EFC: D1050039 20000DB7
	v_exp_f32_e32 v54, v54                                     // 000000008F04: 7E6C4136
	v_exp_f32_e32 v55, v55                                     // 000000008F08: 7E6E4137
	v_exp_f32_e32 v56, v56                                     // 000000008F0C: 7E704138
	v_exp_f32_e32 v57, v57                                     // 000000008F10: 7E724139
	buffer_load_dwordx4 a[108:111], v44, s[12:15], 0 offen offset:3072// 000000008F14: E05C1C00 80836C2C
	v_add_f32_e64 v54, v54, 1.0                                // 000000008F1C: D1010036 0001E536
	v_add_f32_e64 v55, v55, 1.0                                // 000000008F24: D1010037 0001E537
	v_add_f32_e64 v56, v56, 1.0                                // 000000008F2C: D1010038 0001E538
	v_add_f32_e64 v57, v57, 1.0                                // 000000008F34: D1010039 0001E539
	v_rcp_f32_e32 v54, v54                                     // 000000008F3C: 7E6C4536
	v_rcp_f32_e32 v55, v55                                     // 000000008F40: 7E6E4537
	v_rcp_f32_e32 v56, v56                                     // 000000008F44: 7E704538
	v_rcp_f32_e32 v57, v57                                     // 000000008F48: 7E724539
	v_pk_mul_f32 v[180:181], v[180:181], v[54:55]              // 000000008F4C: D3B140B4 18026DB4
	v_pk_mul_f32 v[182:183], v[182:183], v[56:57]              // 000000008F54: D3B140B6 180271B6
	buffer_load_dwordx4 a[112:115], v45, s[12:15], 0 offen     // 000000008F5C: E05C1000 8083702D
	v_mul_f32_e64 v54, -v184, s6                               // 000000008F64: D1050036 20000DB8
	v_mul_f32_e64 v55, -v185, s6                               // 000000008F6C: D1050037 20000DB9
	v_mul_f32_e64 v56, -v186, s6                               // 000000008F74: D1050038 20000DBA
	v_mul_f32_e64 v57, -v187, s6                               // 000000008F7C: D1050039 20000DBB
	v_exp_f32_e32 v54, v54                                     // 000000008F84: 7E6C4136
	v_exp_f32_e32 v55, v55                                     // 000000008F88: 7E6E4137
	v_exp_f32_e32 v56, v56                                     // 000000008F8C: 7E704138
	v_exp_f32_e32 v57, v57                                     // 000000008F90: 7E724139
	buffer_load_dwordx4 a[116:119], v45, s[12:15], 0 offen offset:1024// 000000008F94: E05C1400 8083742D
	v_add_f32_e64 v54, v54, 1.0                                // 000000008F9C: D1010036 0001E536
	v_add_f32_e64 v55, v55, 1.0                                // 000000008FA4: D1010037 0001E537
	v_add_f32_e64 v56, v56, 1.0                                // 000000008FAC: D1010038 0001E538
	v_add_f32_e64 v57, v57, 1.0                                // 000000008FB4: D1010039 0001E539
	v_rcp_f32_e32 v54, v54                                     // 000000008FBC: 7E6C4536
	v_rcp_f32_e32 v55, v55                                     // 000000008FC0: 7E6E4537
	v_rcp_f32_e32 v56, v56                                     // 000000008FC4: 7E704538
	v_rcp_f32_e32 v57, v57                                     // 000000008FC8: 7E724539
	v_pk_mul_f32 v[184:185], v[184:185], v[54:55]              // 000000008FCC: D3B140B8 18026DB8
	v_pk_mul_f32 v[186:187], v[186:187], v[56:57]              // 000000008FD4: D3B140BA 180271BA
	buffer_load_dwordx4 a[120:123], v45, s[12:15], 0 offen offset:2048// 000000008FDC: E05C1800 8083782D
	v_mul_f32_e64 v54, -v188, s6                               // 000000008FE4: D1050036 20000DBC
	v_mul_f32_e64 v55, -v189, s6                               // 000000008FEC: D1050037 20000DBD
	v_mul_f32_e64 v56, -v190, s6                               // 000000008FF4: D1050038 20000DBE
	v_mul_f32_e64 v57, -v191, s6                               // 000000008FFC: D1050039 20000DBF
	v_exp_f32_e32 v54, v54                                     // 000000009004: 7E6C4136
	v_exp_f32_e32 v55, v55                                     // 000000009008: 7E6E4137
	v_exp_f32_e32 v56, v56                                     // 00000000900C: 7E704138
	v_exp_f32_e32 v57, v57                                     // 000000009010: 7E724139
	buffer_load_dwordx4 a[124:127], v45, s[12:15], 0 offen offset:3072// 000000009014: E05C1C00 80837C2D
	v_add_f32_e64 v54, v54, 1.0                                // 00000000901C: D1010036 0001E536
	v_add_f32_e64 v55, v55, 1.0                                // 000000009024: D1010037 0001E537
	v_add_f32_e64 v56, v56, 1.0                                // 00000000902C: D1010038 0001E538
	v_add_f32_e64 v57, v57, 1.0                                // 000000009034: D1010039 0001E539
	v_rcp_f32_e32 v54, v54                                     // 00000000903C: 7E6C4536
	v_rcp_f32_e32 v55, v55                                     // 000000009040: 7E6E4537
	v_rcp_f32_e32 v56, v56                                     // 000000009044: 7E704538
	v_rcp_f32_e32 v57, v57                                     // 000000009048: 7E724539
	v_pk_mul_f32 v[188:189], v[188:189], v[54:55]              // 00000000904C: D3B140BC 18026DBC
	v_pk_mul_f32 v[190:191], v[190:191], v[56:57]              // 000000009054: D3B140BE 180271BE
	v_mul_f32_dpp v128, v18, v128 row_newbcast:0 row_mask:0xf bank_mask:0xf// 00000000905C: 0B0100FA FF015012
	v_mul_f32_dpp v129, v18, v129 row_newbcast:1 row_mask:0xf bank_mask:0xf// 000000009064: 0B0302FA FF015112
	v_mul_f32_dpp v130, v18, v130 row_newbcast:2 row_mask:0xf bank_mask:0xf// 00000000906C: 0B0504FA FF015212
	v_mul_f32_dpp v131, v18, v131 row_newbcast:3 row_mask:0xf bank_mask:0xf// 000000009074: 0B0706FA FF015312
	v_mul_f32_dpp v132, v18, v132 row_newbcast:0 row_mask:0xf bank_mask:0xf// 00000000907C: 0B0908FA FF015012
	v_mul_f32_dpp v133, v18, v133 row_newbcast:1 row_mask:0xf bank_mask:0xf// 000000009084: 0B0B0AFA FF015112
	v_mul_f32_dpp v134, v18, v134 row_newbcast:2 row_mask:0xf bank_mask:0xf// 00000000908C: 0B0D0CFA FF015212
	v_mul_f32_dpp v135, v18, v135 row_newbcast:3 row_mask:0xf bank_mask:0xf// 000000009094: 0B0F0EFA FF015312
	v_mul_f32_dpp v136, v18, v136 row_newbcast:4 row_mask:0xf bank_mask:0xf// 00000000909C: 0B1110FA FF015412
	v_mul_f32_dpp v137, v18, v137 row_newbcast:5 row_mask:0xf bank_mask:0xf// 0000000090A4: 0B1312FA FF015512
	v_mul_f32_dpp v138, v18, v138 row_newbcast:6 row_mask:0xf bank_mask:0xf// 0000000090AC: 0B1514FA FF015612
	v_mul_f32_dpp v139, v18, v139 row_newbcast:7 row_mask:0xf bank_mask:0xf// 0000000090B4: 0B1716FA FF015712
	v_mul_f32_dpp v140, v18, v140 row_newbcast:4 row_mask:0xf bank_mask:0xf// 0000000090BC: 0B1918FA FF015412
	v_mul_f32_dpp v141, v18, v141 row_newbcast:5 row_mask:0xf bank_mask:0xf// 0000000090C4: 0B1B1AFA FF015512
	v_mul_f32_dpp v142, v18, v142 row_newbcast:6 row_mask:0xf bank_mask:0xf// 0000000090CC: 0B1D1CFA FF015612
	v_mul_f32_dpp v143, v18, v143 row_newbcast:7 row_mask:0xf bank_mask:0xf// 0000000090D4: 0B1F1EFA FF015712
	v_mul_f32_dpp v144, v18, v144 row_newbcast:8 row_mask:0xf bank_mask:0xf// 0000000090DC: 0B2120FA FF015812
	v_mul_f32_dpp v145, v18, v145 row_newbcast:9 row_mask:0xf bank_mask:0xf// 0000000090E4: 0B2322FA FF015912
	v_mul_f32_dpp v146, v18, v146 row_newbcast:10 row_mask:0xf bank_mask:0xf// 0000000090EC: 0B2524FA FF015A12
	v_mul_f32_dpp v147, v18, v147 row_newbcast:11 row_mask:0xf bank_mask:0xf// 0000000090F4: 0B2726FA FF015B12
	v_mul_f32_dpp v148, v18, v148 row_newbcast:8 row_mask:0xf bank_mask:0xf// 0000000090FC: 0B2928FA FF015812
	v_mul_f32_dpp v149, v18, v149 row_newbcast:9 row_mask:0xf bank_mask:0xf// 000000009104: 0B2B2AFA FF015912
	v_mul_f32_dpp v150, v18, v150 row_newbcast:10 row_mask:0xf bank_mask:0xf// 00000000910C: 0B2D2CFA FF015A12
	v_mul_f32_dpp v151, v18, v151 row_newbcast:11 row_mask:0xf bank_mask:0xf// 000000009114: 0B2F2EFA FF015B12
	v_mul_f32_dpp v152, v18, v152 row_newbcast:12 row_mask:0xf bank_mask:0xf// 00000000911C: 0B3130FA FF015C12
	v_mul_f32_dpp v153, v18, v153 row_newbcast:13 row_mask:0xf bank_mask:0xf// 000000009124: 0B3332FA FF015D12
	v_mul_f32_dpp v154, v18, v154 row_newbcast:14 row_mask:0xf bank_mask:0xf// 00000000912C: 0B3534FA FF015E12
	v_mul_f32_dpp v155, v18, v155 row_newbcast:15 row_mask:0xf bank_mask:0xf// 000000009134: 0B3736FA FF015F12
	v_mul_f32_dpp v156, v18, v156 row_newbcast:12 row_mask:0xf bank_mask:0xf// 00000000913C: 0B3938FA FF015C12
	v_mul_f32_dpp v157, v18, v157 row_newbcast:13 row_mask:0xf bank_mask:0xf// 000000009144: 0B3B3AFA FF015D12
	v_mul_f32_dpp v158, v18, v158 row_newbcast:14 row_mask:0xf bank_mask:0xf// 00000000914C: 0B3D3CFA FF015E12
	v_mul_f32_dpp v159, v18, v159 row_newbcast:15 row_mask:0xf bank_mask:0xf// 000000009154: 0B3F3EFA FF015F12
	v_mul_f32_dpp v160, v19, v160 row_newbcast:0 row_mask:0xf bank_mask:0xf// 00000000915C: 0B4140FA FF015013
	v_mul_f32_dpp v161, v19, v161 row_newbcast:1 row_mask:0xf bank_mask:0xf// 000000009164: 0B4342FA FF015113
	v_mul_f32_dpp v162, v19, v162 row_newbcast:2 row_mask:0xf bank_mask:0xf// 00000000916C: 0B4544FA FF015213
	v_mul_f32_dpp v163, v19, v163 row_newbcast:3 row_mask:0xf bank_mask:0xf// 000000009174: 0B4746FA FF015313
	v_mul_f32_dpp v164, v19, v164 row_newbcast:0 row_mask:0xf bank_mask:0xf// 00000000917C: 0B4948FA FF015013
	v_mul_f32_dpp v165, v19, v165 row_newbcast:1 row_mask:0xf bank_mask:0xf// 000000009184: 0B4B4AFA FF015113
	v_mul_f32_dpp v166, v19, v166 row_newbcast:2 row_mask:0xf bank_mask:0xf// 00000000918C: 0B4D4CFA FF015213
	v_mul_f32_dpp v167, v19, v167 row_newbcast:3 row_mask:0xf bank_mask:0xf// 000000009194: 0B4F4EFA FF015313
	v_mul_f32_dpp v168, v19, v168 row_newbcast:4 row_mask:0xf bank_mask:0xf// 00000000919C: 0B5150FA FF015413
	v_mul_f32_dpp v169, v19, v169 row_newbcast:5 row_mask:0xf bank_mask:0xf// 0000000091A4: 0B5352FA FF015513
	v_mul_f32_dpp v170, v19, v170 row_newbcast:6 row_mask:0xf bank_mask:0xf// 0000000091AC: 0B5554FA FF015613
	v_mul_f32_dpp v171, v19, v171 row_newbcast:7 row_mask:0xf bank_mask:0xf// 0000000091B4: 0B5756FA FF015713
	v_mul_f32_dpp v172, v19, v172 row_newbcast:4 row_mask:0xf bank_mask:0xf// 0000000091BC: 0B5958FA FF015413
	v_mul_f32_dpp v173, v19, v173 row_newbcast:5 row_mask:0xf bank_mask:0xf// 0000000091C4: 0B5B5AFA FF015513
	v_mul_f32_dpp v174, v19, v174 row_newbcast:6 row_mask:0xf bank_mask:0xf// 0000000091CC: 0B5D5CFA FF015613
	v_mul_f32_dpp v175, v19, v175 row_newbcast:7 row_mask:0xf bank_mask:0xf// 0000000091D4: 0B5F5EFA FF015713
	v_mul_f32_dpp v176, v19, v176 row_newbcast:8 row_mask:0xf bank_mask:0xf// 0000000091DC: 0B6160FA FF015813
	v_mul_f32_dpp v177, v19, v177 row_newbcast:9 row_mask:0xf bank_mask:0xf// 0000000091E4: 0B6362FA FF015913
	v_mul_f32_dpp v178, v19, v178 row_newbcast:10 row_mask:0xf bank_mask:0xf// 0000000091EC: 0B6564FA FF015A13
	v_mul_f32_dpp v179, v19, v179 row_newbcast:11 row_mask:0xf bank_mask:0xf// 0000000091F4: 0B6766FA FF015B13
	v_mul_f32_dpp v180, v19, v180 row_newbcast:8 row_mask:0xf bank_mask:0xf// 0000000091FC: 0B6968FA FF015813
	v_mul_f32_dpp v181, v19, v181 row_newbcast:9 row_mask:0xf bank_mask:0xf// 000000009204: 0B6B6AFA FF015913
	v_mul_f32_dpp v182, v19, v182 row_newbcast:10 row_mask:0xf bank_mask:0xf// 00000000920C: 0B6D6CFA FF015A13
	v_mul_f32_dpp v183, v19, v183 row_newbcast:11 row_mask:0xf bank_mask:0xf// 000000009214: 0B6F6EFA FF015B13
	v_mul_f32_dpp v184, v19, v184 row_newbcast:12 row_mask:0xf bank_mask:0xf// 00000000921C: 0B7170FA FF015C13
	v_mul_f32_dpp v185, v19, v185 row_newbcast:13 row_mask:0xf bank_mask:0xf// 000000009224: 0B7372FA FF015D13
	v_mul_f32_dpp v186, v19, v186 row_newbcast:14 row_mask:0xf bank_mask:0xf// 00000000922C: 0B7574FA FF015E13
	v_mul_f32_dpp v187, v19, v187 row_newbcast:15 row_mask:0xf bank_mask:0xf// 000000009234: 0B7776FA FF015F13
	v_mul_f32_dpp v188, v19, v188 row_newbcast:12 row_mask:0xf bank_mask:0xf// 00000000923C: 0B7978FA FF015C13
	v_mul_f32_dpp v189, v19, v189 row_newbcast:13 row_mask:0xf bank_mask:0xf// 000000009244: 0B7B7AFA FF015D13
	v_mul_f32_dpp v190, v19, v190 row_newbcast:14 row_mask:0xf bank_mask:0xf// 00000000924C: 0B7D7CFA FF015E13
	v_mul_f32_dpp v191, v19, v191 row_newbcast:15 row_mask:0xf bank_mask:0xf// 000000009254: 0B7F7EFA FF015F13
	buffer_load_dword v12, v5, s[16:19], 0 offen               // 00000000925C: E0501000 80040C05
	v_mov_b32_e32 v22, 0x358637bd                              // 000000009264: 7E2C02FF 358637BD
	v_mov_b32_e32 v23, 0x358637bd                              // 00000000926C: 7E2E02FF 358637BD
	v_max3_f32 v22, |v128|, |v129|, v22                        // 000000009274: D1D30316 045B0380
	v_max3_f32 v22, |v130|, |v131|, v22                        // 00000000927C: D1D30316 045B0782
	v_max3_f32 v23, |v132|, |v133|, v23                        // 000000009284: D1D30317 045F0B84
	v_max3_f32 v23, |v134|, |v135|, v23                        // 00000000928C: D1D30317 045F0F86
	v_max3_f32 v22, |v136|, |v137|, v22                        // 000000009294: D1D30316 045B1388
	v_max3_f32 v22, |v138|, |v139|, v22                        // 00000000929C: D1D30316 045B178A
	v_max3_f32 v23, |v140|, |v141|, v23                        // 0000000092A4: D1D30317 045F1B8C
	v_max3_f32 v23, |v142|, |v143|, v23                        // 0000000092AC: D1D30317 045F1F8E
	v_max3_f32 v22, |v144|, |v145|, v22                        // 0000000092B4: D1D30316 045B2390
	v_max3_f32 v22, |v146|, |v147|, v22                        // 0000000092BC: D1D30316 045B2792
	v_max3_f32 v23, |v148|, |v149|, v23                        // 0000000092C4: D1D30317 045F2B94
	v_max3_f32 v23, |v150|, |v151|, v23                        // 0000000092CC: D1D30317 045F2F96
	v_max3_f32 v22, |v152|, |v153|, v22                        // 0000000092D4: D1D30316 045B3398
	v_max3_f32 v22, |v154|, |v155|, v22                        // 0000000092DC: D1D30316 045B379A
	v_max3_f32 v23, |v156|, |v157|, v23                        // 0000000092E4: D1D30317 045F3B9C
	v_max3_f32 v23, |v158|, |v159|, v23                        // 0000000092EC: D1D30317 045F3F9E
	v_max3_f32 v22, |v160|, |v161|, v22                        // 0000000092F4: D1D30316 045B43A0
	v_max3_f32 v22, |v162|, |v163|, v22                        // 0000000092FC: D1D30316 045B47A2
	v_max3_f32 v23, |v164|, |v165|, v23                        // 000000009304: D1D30317 045F4BA4
	v_max3_f32 v23, |v166|, |v167|, v23                        // 00000000930C: D1D30317 045F4FA6
	v_max3_f32 v22, |v168|, |v169|, v22                        // 000000009314: D1D30316 045B53A8
	v_max3_f32 v22, |v170|, |v171|, v22                        // 00000000931C: D1D30316 045B57AA
	v_max3_f32 v23, |v172|, |v173|, v23                        // 000000009324: D1D30317 045F5BAC
	v_max3_f32 v23, |v174|, |v175|, v23                        // 00000000932C: D1D30317 045F5FAE
	v_max3_f32 v22, |v176|, |v177|, v22                        // 000000009334: D1D30316 045B63B0
	v_max3_f32 v22, |v178|, |v179|, v22                        // 00000000933C: D1D30316 045B67B2
	v_max3_f32 v23, |v180|, |v181|, v23                        // 000000009344: D1D30317 045F6BB4
	v_max3_f32 v23, |v182|, |v183|, v23                        // 00000000934C: D1D30317 045F6FB6
	v_max3_f32 v22, |v184|, |v185|, v22                        // 000000009354: D1D30316 045B73B8
	v_max3_f32 v22, |v186|, |v187|, v22                        // 00000000935C: D1D30316 045B77BA
	v_max3_f32 v23, |v188|, |v189|, v23                        // 000000009364: D1D30317 045F7BBC
	v_max3_f32 v23, |v190|, |v191|, v23                        // 00000000936C: D1D30317 045F7FBE
	v_lshlrev_b32_e32 v54, 3, v0                               // 000000009374: 246C0083
	s_mul_i32 s60, 0x200, s5                                   // 000000009378: 923C05FF 00000200
	v_add_u32_e32 v54, s60, v54                                // 000000009380: 686C6C3C
	ds_write_b64 v54, v[22:23] offset:16640                    // 000000009384: D89A4100 00001636
	s_waitcnt lgkmcnt(0)                                       // 00000000938C: BF8CC07F
	s_barrier                                                  // 000000009390: BF8A0000
	v_and_b32_e32 v54, 15, v0                                  // 000000009394: 266C008F
	v_lshlrev_b32_e32 v54, 3, v54                              // 000000009398: 246C6C83
	ds_read_b64 v[96:97], v54 offset:16640                     // 00000000939C: D8EC4100 60000036
	ds_read_b64 v[98:99], v54 offset:16768                     // 0000000093A4: D8EC4180 62000036
	ds_read_b64 v[100:101], v54 offset:16896                   // 0000000093AC: D8EC4200 64000036
	ds_read_b64 v[102:103], v54 offset:17024                   // 0000000093B4: D8EC4280 66000036
	ds_read_b64 v[104:105], v54 offset:17152                   // 0000000093BC: D8EC4300 68000036
	ds_read_b64 v[106:107], v54 offset:17280                   // 0000000093C4: D8EC4380 6A000036
	ds_read_b64 v[108:109], v54 offset:17408                   // 0000000093CC: D8EC4400 6C000036
	ds_read_b64 v[110:111], v54 offset:17536                   // 0000000093D4: D8EC4480 6E000036
	ds_read_b64 v[112:113], v54 offset:17664                   // 0000000093DC: D8EC4500 70000036
	ds_read_b64 v[114:115], v54 offset:17792                   // 0000000093E4: D8EC4580 72000036
	ds_read_b64 v[116:117], v54 offset:17920                   // 0000000093EC: D8EC4600 74000036
	ds_read_b64 v[118:119], v54 offset:18048                   // 0000000093F4: D8EC4680 76000036
	ds_read_b64 v[120:121], v54 offset:18176                   // 0000000093FC: D8EC4700 78000036
	ds_read_b64 v[122:123], v54 offset:18304                   // 000000009404: D8EC4780 7A000036
	ds_read_b64 v[124:125], v54 offset:18432                   // 00000000940C: D8EC4800 7C000036
	ds_read_b64 v[126:127], v54 offset:18560                   // 000000009414: D8EC4880 7E000036
	s_waitcnt lgkmcnt(0)                                       // 00000000941C: BF8CC07F
	v_max3_f32 v22, |v96|, |v98|, v22                          // 000000009420: D1D30316 045AC560
	v_max3_f32 v23, |v97|, |v99|, v23                          // 000000009428: D1D30317 045EC761
	v_max3_f32 v22, |v100|, |v102|, v22                        // 000000009430: D1D30316 045ACD64
	v_max3_f32 v23, |v101|, |v103|, v23                        // 000000009438: D1D30317 045ECF65
	v_max3_f32 v22, |v104|, |v106|, v22                        // 000000009440: D1D30316 045AD568
	v_max3_f32 v23, |v105|, |v107|, v23                        // 000000009448: D1D30317 045ED769
	v_max3_f32 v22, |v108|, |v110|, v22                        // 000000009450: D1D30316 045ADD6C
	v_max3_f32 v23, |v109|, |v111|, v23                        // 000000009458: D1D30317 045EDF6D
	v_max3_f32 v22, |v112|, |v114|, v22                        // 000000009460: D1D30316 045AE570
	v_max3_f32 v23, |v113|, |v115|, v23                        // 000000009468: D1D30317 045EE771
	v_max3_f32 v22, |v116|, |v118|, v22                        // 000000009470: D1D30316 045AED74
	v_max3_f32 v23, |v117|, |v119|, v23                        // 000000009478: D1D30317 045EEF75
	v_max3_f32 v22, |v120|, |v122|, v22                        // 000000009480: D1D30316 045AF578
	v_max3_f32 v23, |v121|, |v123|, v23                        // 000000009488: D1D30317 045EF779
	v_max3_f32 v22, |v124|, |v126|, v22                        // 000000009490: D1D30316 045AFD7C
	v_max3_f32 v23, |v125|, |v127|, v23                        // 000000009498: D1D30317 045EFF7D
	v_rcp_f32_e32 v22, v22                                     // 0000000094A0: 7E2C4516
	v_rcp_f32_e32 v23, v23                                     // 0000000094A4: 7E2E4517
	v_mul_f32_e32 v22, 0x42fe0000, v22                         // 0000000094A8: 0A2C2CFF 42FE0000
	v_mul_f32_e32 v23, 0x42fe0000, v23                         // 0000000094B0: 0A2E2EFF 42FE0000
	v_mul_f32_e32 v128, v22, v128                              // 0000000094B8: 0B010116
	v_mul_f32_e32 v129, v22, v129                              // 0000000094BC: 0B030316
	v_mul_f32_e32 v130, v22, v130                              // 0000000094C0: 0B050516
	v_mul_f32_e32 v131, v22, v131                              // 0000000094C4: 0B070716
	v_cvt_i32_f32_e32 v128, v128                               // 0000000094C8: 7F001180
	v_cvt_i32_f32_e32 v129, v129                               // 0000000094CC: 7F021181
	v_cvt_i32_f32_e32 v130, v130                               // 0000000094D0: 7F041182
	v_cvt_i32_f32_e32 v131, v131                               // 0000000094D4: 7F061183
	v_perm_b32 v128, v129, v128, s53                           // 0000000094D8: D1ED0080 00D70181
	v_perm_b32 v128, v130, v128, s54                           // 0000000094E0: D1ED0080 00DB0182
	v_perm_b32 v128, v131, v128, s55                           // 0000000094E8: D1ED0080 00DF0183
	v_mul_f32_e32 v132, v23, v132                              // 0000000094F0: 0B090917
	v_mul_f32_e32 v133, v23, v133                              // 0000000094F4: 0B0B0B17
	v_mul_f32_e32 v134, v23, v134                              // 0000000094F8: 0B0D0D17
	v_mul_f32_e32 v135, v23, v135                              // 0000000094FC: 0B0F0F17
	v_cvt_i32_f32_e32 v132, v132                               // 000000009500: 7F081184
	v_cvt_i32_f32_e32 v133, v133                               // 000000009504: 7F0A1185
	v_cvt_i32_f32_e32 v134, v134                               // 000000009508: 7F0C1186
	v_cvt_i32_f32_e32 v135, v135                               // 00000000950C: 7F0E1187
	v_perm_b32 v129, v133, v132, s53                           // 000000009510: D1ED0081 00D70985
	v_perm_b32 v129, v134, v129, s54                           // 000000009518: D1ED0081 00DB0386
	v_perm_b32 v129, v135, v129, s55                           // 000000009520: D1ED0081 00DF0387
	v_mul_f32_e32 v136, v22, v136                              // 000000009528: 0B111116
	v_mul_f32_e32 v137, v22, v137                              // 00000000952C: 0B131316
	v_mul_f32_e32 v138, v22, v138                              // 000000009530: 0B151516
	v_mul_f32_e32 v139, v22, v139                              // 000000009534: 0B171716
	v_cvt_i32_f32_e32 v136, v136                               // 000000009538: 7F101188
	v_cvt_i32_f32_e32 v137, v137                               // 00000000953C: 7F121189
	v_cvt_i32_f32_e32 v138, v138                               // 000000009540: 7F14118A
	v_cvt_i32_f32_e32 v139, v139                               // 000000009544: 7F16118B
	v_perm_b32 v130, v137, v136, s53                           // 000000009548: D1ED0082 00D71189
	v_perm_b32 v130, v138, v130, s54                           // 000000009550: D1ED0082 00DB058A
	v_perm_b32 v130, v139, v130, s55                           // 000000009558: D1ED0082 00DF058B
	v_mul_f32_e32 v140, v23, v140                              // 000000009560: 0B191917
	v_mul_f32_e32 v141, v23, v141                              // 000000009564: 0B1B1B17
	v_mul_f32_e32 v142, v23, v142                              // 000000009568: 0B1D1D17
	v_mul_f32_e32 v143, v23, v143                              // 00000000956C: 0B1F1F17
	v_cvt_i32_f32_e32 v140, v140                               // 000000009570: 7F18118C
	v_cvt_i32_f32_e32 v141, v141                               // 000000009574: 7F1A118D
	v_cvt_i32_f32_e32 v142, v142                               // 000000009578: 7F1C118E
	v_cvt_i32_f32_e32 v143, v143                               // 00000000957C: 7F1E118F
	v_perm_b32 v131, v141, v140, s53                           // 000000009580: D1ED0083 00D7198D
	v_perm_b32 v131, v142, v131, s54                           // 000000009588: D1ED0083 00DB078E
	v_perm_b32 v131, v143, v131, s55                           // 000000009590: D1ED0083 00DF078F
	v_mul_f32_e32 v144, v22, v144                              // 000000009598: 0B212116
	v_mul_f32_e32 v145, v22, v145                              // 00000000959C: 0B232316
	v_mul_f32_e32 v146, v22, v146                              // 0000000095A0: 0B252516
	v_mul_f32_e32 v147, v22, v147                              // 0000000095A4: 0B272716
	v_cvt_i32_f32_e32 v144, v144                               // 0000000095A8: 7F201190
	v_cvt_i32_f32_e32 v145, v145                               // 0000000095AC: 7F221191
	v_cvt_i32_f32_e32 v146, v146                               // 0000000095B0: 7F241192
	v_cvt_i32_f32_e32 v147, v147                               // 0000000095B4: 7F261193
	v_perm_b32 v132, v145, v144, s53                           // 0000000095B8: D1ED0084 00D72191
	v_perm_b32 v132, v146, v132, s54                           // 0000000095C0: D1ED0084 00DB0992
	v_perm_b32 v132, v147, v132, s55                           // 0000000095C8: D1ED0084 00DF0993
	v_mul_f32_e32 v148, v23, v148                              // 0000000095D0: 0B292917
	v_mul_f32_e32 v149, v23, v149                              // 0000000095D4: 0B2B2B17
	v_mul_f32_e32 v150, v23, v150                              // 0000000095D8: 0B2D2D17
	v_mul_f32_e32 v151, v23, v151                              // 0000000095DC: 0B2F2F17
	v_cvt_i32_f32_e32 v148, v148                               // 0000000095E0: 7F281194
	v_cvt_i32_f32_e32 v149, v149                               // 0000000095E4: 7F2A1195
	v_cvt_i32_f32_e32 v150, v150                               // 0000000095E8: 7F2C1196
	v_cvt_i32_f32_e32 v151, v151                               // 0000000095EC: 7F2E1197
	v_perm_b32 v133, v149, v148, s53                           // 0000000095F0: D1ED0085 00D72995
	v_perm_b32 v133, v150, v133, s54                           // 0000000095F8: D1ED0085 00DB0B96
	v_perm_b32 v133, v151, v133, s55                           // 000000009600: D1ED0085 00DF0B97
	v_mul_f32_e32 v152, v22, v152                              // 000000009608: 0B313116
	v_mul_f32_e32 v153, v22, v153                              // 00000000960C: 0B333316
	v_mul_f32_e32 v154, v22, v154                              // 000000009610: 0B353516
	v_mul_f32_e32 v155, v22, v155                              // 000000009614: 0B373716
	v_cvt_i32_f32_e32 v152, v152                               // 000000009618: 7F301198
	v_cvt_i32_f32_e32 v153, v153                               // 00000000961C: 7F321199
	v_cvt_i32_f32_e32 v154, v154                               // 000000009620: 7F34119A
	v_cvt_i32_f32_e32 v155, v155                               // 000000009624: 7F36119B
	v_perm_b32 v134, v153, v152, s53                           // 000000009628: D1ED0086 00D73199
	v_perm_b32 v134, v154, v134, s54                           // 000000009630: D1ED0086 00DB0D9A
	v_perm_b32 v134, v155, v134, s55                           // 000000009638: D1ED0086 00DF0D9B
	v_mul_f32_e32 v156, v23, v156                              // 000000009640: 0B393917
	v_mul_f32_e32 v157, v23, v157                              // 000000009644: 0B3B3B17
	v_mul_f32_e32 v158, v23, v158                              // 000000009648: 0B3D3D17
	v_mul_f32_e32 v159, v23, v159                              // 00000000964C: 0B3F3F17
	v_cvt_i32_f32_e32 v156, v156                               // 000000009650: 7F38119C
	v_cvt_i32_f32_e32 v157, v157                               // 000000009654: 7F3A119D
	v_cvt_i32_f32_e32 v158, v158                               // 000000009658: 7F3C119E
	v_cvt_i32_f32_e32 v159, v159                               // 00000000965C: 7F3E119F
	v_perm_b32 v135, v157, v156, s53                           // 000000009660: D1ED0087 00D7399D
	v_perm_b32 v135, v158, v135, s54                           // 000000009668: D1ED0087 00DB0F9E
	v_perm_b32 v135, v159, v135, s55                           // 000000009670: D1ED0087 00DF0F9F
	v_mul_f32_e32 v160, v22, v160                              // 000000009678: 0B414116
	v_mul_f32_e32 v161, v22, v161                              // 00000000967C: 0B434316
	v_mul_f32_e32 v162, v22, v162                              // 000000009680: 0B454516
	v_mul_f32_e32 v163, v22, v163                              // 000000009684: 0B474716
	v_cvt_i32_f32_e32 v160, v160                               // 000000009688: 7F4011A0
	v_cvt_i32_f32_e32 v161, v161                               // 00000000968C: 7F4211A1
	v_cvt_i32_f32_e32 v162, v162                               // 000000009690: 7F4411A2
	v_cvt_i32_f32_e32 v163, v163                               // 000000009694: 7F4611A3
	v_perm_b32 v136, v161, v160, s53                           // 000000009698: D1ED0088 00D741A1
	v_perm_b32 v136, v162, v136, s54                           // 0000000096A0: D1ED0088 00DB11A2
	v_perm_b32 v136, v163, v136, s55                           // 0000000096A8: D1ED0088 00DF11A3
	v_mul_f32_e32 v164, v23, v164                              // 0000000096B0: 0B494917
	v_mul_f32_e32 v165, v23, v165                              // 0000000096B4: 0B4B4B17
	v_mul_f32_e32 v166, v23, v166                              // 0000000096B8: 0B4D4D17
	v_mul_f32_e32 v167, v23, v167                              // 0000000096BC: 0B4F4F17
	v_cvt_i32_f32_e32 v164, v164                               // 0000000096C0: 7F4811A4
	v_cvt_i32_f32_e32 v165, v165                               // 0000000096C4: 7F4A11A5
	v_cvt_i32_f32_e32 v166, v166                               // 0000000096C8: 7F4C11A6
	v_cvt_i32_f32_e32 v167, v167                               // 0000000096CC: 7F4E11A7
	v_perm_b32 v137, v165, v164, s53                           // 0000000096D0: D1ED0089 00D749A5
	v_perm_b32 v137, v166, v137, s54                           // 0000000096D8: D1ED0089 00DB13A6
	v_perm_b32 v137, v167, v137, s55                           // 0000000096E0: D1ED0089 00DF13A7
	v_mul_f32_e32 v168, v22, v168                              // 0000000096E8: 0B515116
	v_mul_f32_e32 v169, v22, v169                              // 0000000096EC: 0B535316
	v_mul_f32_e32 v170, v22, v170                              // 0000000096F0: 0B555516
	v_mul_f32_e32 v171, v22, v171                              // 0000000096F4: 0B575716
	v_cvt_i32_f32_e32 v168, v168                               // 0000000096F8: 7F5011A8
	v_cvt_i32_f32_e32 v169, v169                               // 0000000096FC: 7F5211A9
	v_cvt_i32_f32_e32 v170, v170                               // 000000009700: 7F5411AA
	v_cvt_i32_f32_e32 v171, v171                               // 000000009704: 7F5611AB
	v_perm_b32 v138, v169, v168, s53                           // 000000009708: D1ED008A 00D751A9
	v_perm_b32 v138, v170, v138, s54                           // 000000009710: D1ED008A 00DB15AA
	v_perm_b32 v138, v171, v138, s55                           // 000000009718: D1ED008A 00DF15AB
	v_mul_f32_e32 v172, v23, v172                              // 000000009720: 0B595917
	v_mul_f32_e32 v173, v23, v173                              // 000000009724: 0B5B5B17
	v_mul_f32_e32 v174, v23, v174                              // 000000009728: 0B5D5D17
	v_mul_f32_e32 v175, v23, v175                              // 00000000972C: 0B5F5F17
	v_cvt_i32_f32_e32 v172, v172                               // 000000009730: 7F5811AC
	v_cvt_i32_f32_e32 v173, v173                               // 000000009734: 7F5A11AD
	v_cvt_i32_f32_e32 v174, v174                               // 000000009738: 7F5C11AE
	v_cvt_i32_f32_e32 v175, v175                               // 00000000973C: 7F5E11AF
	v_perm_b32 v139, v173, v172, s53                           // 000000009740: D1ED008B 00D759AD
	v_perm_b32 v139, v174, v139, s54                           // 000000009748: D1ED008B 00DB17AE
	v_perm_b32 v139, v175, v139, s55                           // 000000009750: D1ED008B 00DF17AF
	v_mul_f32_e32 v176, v22, v176                              // 000000009758: 0B616116
	v_mul_f32_e32 v177, v22, v177                              // 00000000975C: 0B636316
	v_mul_f32_e32 v178, v22, v178                              // 000000009760: 0B656516
	v_mul_f32_e32 v179, v22, v179                              // 000000009764: 0B676716
	v_cvt_i32_f32_e32 v176, v176                               // 000000009768: 7F6011B0
	v_cvt_i32_f32_e32 v177, v177                               // 00000000976C: 7F6211B1
	v_cvt_i32_f32_e32 v178, v178                               // 000000009770: 7F6411B2
	v_cvt_i32_f32_e32 v179, v179                               // 000000009774: 7F6611B3
	v_perm_b32 v140, v177, v176, s53                           // 000000009778: D1ED008C 00D761B1
	v_perm_b32 v140, v178, v140, s54                           // 000000009780: D1ED008C 00DB19B2
	v_perm_b32 v140, v179, v140, s55                           // 000000009788: D1ED008C 00DF19B3
	v_mul_f32_e32 v180, v23, v180                              // 000000009790: 0B696917
	v_mul_f32_e32 v181, v23, v181                              // 000000009794: 0B6B6B17
	v_mul_f32_e32 v182, v23, v182                              // 000000009798: 0B6D6D17
	v_mul_f32_e32 v183, v23, v183                              // 00000000979C: 0B6F6F17
	v_cvt_i32_f32_e32 v180, v180                               // 0000000097A0: 7F6811B4
	v_cvt_i32_f32_e32 v181, v181                               // 0000000097A4: 7F6A11B5
	v_cvt_i32_f32_e32 v182, v182                               // 0000000097A8: 7F6C11B6
	v_cvt_i32_f32_e32 v183, v183                               // 0000000097AC: 7F6E11B7
	v_perm_b32 v141, v181, v180, s53                           // 0000000097B0: D1ED008D 00D769B5
	v_perm_b32 v141, v182, v141, s54                           // 0000000097B8: D1ED008D 00DB1BB6
	v_perm_b32 v141, v183, v141, s55                           // 0000000097C0: D1ED008D 00DF1BB7
	v_mul_f32_e32 v184, v22, v184                              // 0000000097C8: 0B717116
	v_mul_f32_e32 v185, v22, v185                              // 0000000097CC: 0B737316
	v_mul_f32_e32 v186, v22, v186                              // 0000000097D0: 0B757516
	v_mul_f32_e32 v187, v22, v187                              // 0000000097D4: 0B777716
	v_cvt_i32_f32_e32 v184, v184                               // 0000000097D8: 7F7011B8
	v_cvt_i32_f32_e32 v185, v185                               // 0000000097DC: 7F7211B9
	v_cvt_i32_f32_e32 v186, v186                               // 0000000097E0: 7F7411BA
	v_cvt_i32_f32_e32 v187, v187                               // 0000000097E4: 7F7611BB
	v_perm_b32 v142, v185, v184, s53                           // 0000000097E8: D1ED008E 00D771B9
	v_perm_b32 v142, v186, v142, s54                           // 0000000097F0: D1ED008E 00DB1DBA
	v_perm_b32 v142, v187, v142, s55                           // 0000000097F8: D1ED008E 00DF1DBB
	v_mul_f32_e32 v188, v23, v188                              // 000000009800: 0B797917
	v_mul_f32_e32 v189, v23, v189                              // 000000009804: 0B7B7B17
	v_mul_f32_e32 v190, v23, v190                              // 000000009808: 0B7D7D17
	v_mul_f32_e32 v191, v23, v191                              // 00000000980C: 0B7F7F17
	v_cvt_i32_f32_e32 v188, v188                               // 000000009810: 7F7811BC
	v_cvt_i32_f32_e32 v189, v189                               // 000000009814: 7F7A11BD
	v_cvt_i32_f32_e32 v190, v190                               // 000000009818: 7F7C11BE
	v_cvt_i32_f32_e32 v191, v191                               // 00000000981C: 7F7E11BF
	v_perm_b32 v143, v189, v188, s53                           // 000000009820: D1ED008F 00D779BD
	v_perm_b32 v143, v190, v143, s54                           // 000000009828: D1ED008F 00DB1FBE
	v_perm_b32 v143, v191, v143, s55                           // 000000009830: D1ED008F 00DF1FBF
	v_rcp_f32_e32 v24, v22                                     // 000000009838: 7E304516
	v_rcp_f32_e32 v25, v23                                     // 00000000983C: 7E324517
	v_lshrrev_b32_e32 v54, 5, v0                               // 000000009840: 206C0085
	v_lshlrev_b32_e32 v55, 5, v54                              // 000000009844: 246E6C85
	v_and_b32_e32 v54, 31, v0                                  // 000000009848: 266C009F
	v_lshrrev_b32_e32 v56, 4, v54                              // 00000000984C: 20706C84
	v_add_u32_e32 v55, v56, v55                                // 000000009850: 686E6F38
	v_and_b32_e32 v54, 15, v0                                  // 000000009854: 266C008F
	v_lshlrev_b32_e32 v54, 1, v54                              // 000000009858: 246C6C81
	v_add_u32_e32 v55, v54, v55                                // 00000000985C: 686E6F36
	v_lshlrev_b32_e32 v54, 2, v55                              // 000000009860: 246C6E82
	s_mul_i32 s60, 0x100, s5                                   // 000000009864: 923C05FF 00000100
	v_add_u32_e64 v54, v54, s60                                // 00000000986C: D1340036 00007936
	ds_write_b32 v54, v128 offset:18688                        // 000000009874: D81A4900 00008036
	ds_write_b32 v54, v129 offset:26880                        // 00000000987C: D81A6900 00008136
	ds_write_b32 v54, v130 offset:19712                        // 000000009884: D81A4D00 00008236
	ds_write_b32 v54, v131 offset:27904                        // 00000000988C: D81A6D00 00008336
	ds_write_b32 v54, v132 offset:20736                        // 000000009894: D81A5100 00008436
	ds_write_b32 v54, v133 offset:28928                        // 00000000989C: D81A7100 00008536
	ds_write_b32 v54, v134 offset:21760                        // 0000000098A4: D81A5500 00008636
	ds_write_b32 v54, v135 offset:29952                        // 0000000098AC: D81A7500 00008736
	ds_write_b32 v54, v136 offset:22784                        // 0000000098B4: D81A5900 00008836
	ds_write_b32 v54, v137 offset:30976                        // 0000000098BC: D81A7900 00008936
	ds_write_b32 v54, v138 offset:23808                        // 0000000098C4: D81A5D00 00008A36
	ds_write_b32 v54, v139 offset:32000                        // 0000000098CC: D81A7D00 00008B36
	ds_write_b32 v54, v140 offset:24832                        // 0000000098D4: D81A6100 00008C36
	ds_write_b32 v54, v141 offset:33024                        // 0000000098DC: D81A8100 00008D36
	ds_write_b32 v54, v142 offset:25856                        // 0000000098E4: D81A6500 00008E36
	ds_write_b32 v54, v143 offset:34048                        // 0000000098EC: D81A8500 00008F36
	s_waitcnt lgkmcnt(0)                                       // 0000000098F4: BF8CC07F
	s_barrier                                                  // 0000000098F8: BF8A0000
	v_lshrrev_b32_e32 v54, 4, v0                               // 0000000098FC: 206C0084
	v_lshlrev_b32_e32 v55, 6, v54                              // 000000009900: 246E6C86
	v_and_b32_e32 v54, 15, v0                                  // 000000009904: 266C008F
	v_lshlrev_b32_e32 v54, 1, v54                              // 000000009908: 246C6C81
	v_add_u32_e32 v55, v54, v55                                // 00000000990C: 686E6F36
	v_lshlrev_b32_e32 v54, 2, v55                              // 000000009910: 246C6E82
	ds_read_b64 v[128:129], v54 offset:18688                   // 000000009914: D8EC4900 80000036
	ds_read_b64 v[130:131], v54 offset:18816                   // 00000000991C: D8EC4980 82000036
	ds_read_b64 v[132:133], v54 offset:19712                   // 000000009924: D8EC4D00 84000036
	ds_read_b64 v[134:135], v54 offset:19840                   // 00000000992C: D8EC4D80 86000036
	ds_read_b64 v[136:137], v54 offset:20736                   // 000000009934: D8EC5100 88000036
	ds_read_b64 v[138:139], v54 offset:20864                   // 00000000993C: D8EC5180 8A000036
	ds_read_b64 v[140:141], v54 offset:21760                   // 000000009944: D8EC5500 8C000036
	ds_read_b64 v[142:143], v54 offset:21888                   // 00000000994C: D8EC5580 8E000036
	ds_read_b64 v[144:145], v54 offset:22784                   // 000000009954: D8EC5900 90000036
	ds_read_b64 v[146:147], v54 offset:22912                   // 00000000995C: D8EC5980 92000036
	ds_read_b64 v[148:149], v54 offset:23808                   // 000000009964: D8EC5D00 94000036
	ds_read_b64 v[150:151], v54 offset:23936                   // 00000000996C: D8EC5D80 96000036
	ds_read_b64 v[152:153], v54 offset:24832                   // 000000009974: D8EC6100 98000036
	ds_read_b64 v[154:155], v54 offset:24960                   // 00000000997C: D8EC6180 9A000036
	ds_read_b64 v[156:157], v54 offset:25856                   // 000000009984: D8EC6500 9C000036
	ds_read_b64 v[158:159], v54 offset:25984                   // 00000000998C: D8EC6580 9E000036
	ds_read_b64 v[160:161], v54 offset:26880                   // 000000009994: D8EC6900 A0000036
	ds_read_b64 v[162:163], v54 offset:27008                   // 00000000999C: D8EC6980 A2000036
	ds_read_b64 v[164:165], v54 offset:27904                   // 0000000099A4: D8EC6D00 A4000036
	ds_read_b64 v[166:167], v54 offset:28032                   // 0000000099AC: D8EC6D80 A6000036
	ds_read_b64 v[168:169], v54 offset:28928                   // 0000000099B4: D8EC7100 A8000036
	ds_read_b64 v[170:171], v54 offset:29056                   // 0000000099BC: D8EC7180 AA000036
	ds_read_b64 v[172:173], v54 offset:29952                   // 0000000099C4: D8EC7500 AC000036
	ds_read_b64 v[174:175], v54 offset:30080                   // 0000000099CC: D8EC7580 AE000036
	ds_read_b64 v[176:177], v54 offset:30976                   // 0000000099D4: D8EC7900 B0000036
	ds_read_b64 v[178:179], v54 offset:31104                   // 0000000099DC: D8EC7980 B2000036
	ds_read_b64 v[180:181], v54 offset:32000                   // 0000000099E4: D8EC7D00 B4000036
	ds_read_b64 v[182:183], v54 offset:32128                   // 0000000099EC: D8EC7D80 B6000036
	ds_read_b64 v[184:185], v54 offset:33024                   // 0000000099F4: D8EC8100 B8000036
	ds_read_b64 v[186:187], v54 offset:33152                   // 0000000099FC: D8EC8180 BA000036
	ds_read_b64 v[188:189], v54 offset:34048                   // 000000009A04: D8EC8500 BC000036
	ds_read_b64 v[190:191], v54 offset:34176                   // 000000009A0C: D8EC8580 BE000036
	s_add_u32 s12, s56, s12                                    // 000000009A14: 800C0C38
	s_addc_u32 s13, 0, s13                                     // 000000009A18: 820D0D80
	s_add_u32 s16, s79, s16                                    // 000000009A1C: 8010104F
	s_addc_u32 s17, 0, s17                                     // 000000009A20: 82111180
	s_waitcnt lgkmcnt(0)                                       // 000000009A24: BF8CC07F
	s_barrier                                                  // 000000009A28: BF8A0000
	v_mov_b32_e32 v192, 0                                      // 000000009A2C: 7F800280
	v_mov_b32_e32 v224, 0                                      // 000000009A30: 7FC00280
	v_mov_b32_e32 v193, 0                                      // 000000009A34: 7F820280
	v_mov_b32_e32 v225, 0                                      // 000000009A38: 7FC20280
	v_mov_b32_e32 v194, 0                                      // 000000009A3C: 7F840280
	v_mov_b32_e32 v226, 0                                      // 000000009A40: 7FC40280
	v_mov_b32_e32 v195, 0                                      // 000000009A44: 7F860280
	v_mov_b32_e32 v227, 0                                      // 000000009A48: 7FC60280
	v_mov_b32_e32 v196, 0                                      // 000000009A4C: 7F880280
	v_mov_b32_e32 v228, 0                                      // 000000009A50: 7FC80280
	v_mov_b32_e32 v197, 0                                      // 000000009A54: 7F8A0280
	v_mov_b32_e32 v229, 0                                      // 000000009A58: 7FCA0280
	v_mov_b32_e32 v198, 0                                      // 000000009A5C: 7F8C0280
	v_mov_b32_e32 v230, 0                                      // 000000009A60: 7FCC0280
	v_mov_b32_e32 v199, 0                                      // 000000009A64: 7F8E0280
	v_mov_b32_e32 v231, 0                                      // 000000009A68: 7FCE0280
	v_mov_b32_e32 v200, 0                                      // 000000009A6C: 7F900280
	v_mov_b32_e32 v232, 0                                      // 000000009A70: 7FD00280
	v_mov_b32_e32 v201, 0                                      // 000000009A74: 7F920280
	v_mov_b32_e32 v233, 0                                      // 000000009A78: 7FD20280
	v_mov_b32_e32 v202, 0                                      // 000000009A7C: 7F940280
	v_mov_b32_e32 v234, 0                                      // 000000009A80: 7FD40280
	v_mov_b32_e32 v203, 0                                      // 000000009A84: 7F960280
	v_mov_b32_e32 v235, 0                                      // 000000009A88: 7FD60280
	v_mov_b32_e32 v204, 0                                      // 000000009A8C: 7F980280
	v_mov_b32_e32 v236, 0                                      // 000000009A90: 7FD80280
	v_mov_b32_e32 v205, 0                                      // 000000009A94: 7F9A0280
	v_mov_b32_e32 v237, 0                                      // 000000009A98: 7FDA0280
	v_mov_b32_e32 v206, 0                                      // 000000009A9C: 7F9C0280
	v_mov_b32_e32 v238, 0                                      // 000000009AA0: 7FDC0280
	v_mov_b32_e32 v207, 0                                      // 000000009AA4: 7F9E0280
	v_mov_b32_e32 v239, 0                                      // 000000009AA8: 7FDE0280
	ds_write_b64 v3, v[192:193] offset:18688                   // 000000009AAC: D89A4900 0000C003
	ds_write_b64 v3, v[194:195] offset:27392                   // 000000009AB4: D89A6B00 0000C203
	ds_write_b64 v3, v[196:197] offset:20864                   // 000000009ABC: D89A5180 0000C403
	ds_write_b64 v3, v[198:199] offset:29568                   // 000000009AC4: D89A7380 0000C603
	ds_write_b64 v3, v[200:201] offset:23040                   // 000000009ACC: D89A5A00 0000C803
	ds_write_b64 v3, v[202:203] offset:31744                   // 000000009AD4: D89A7C00 0000CA03
	ds_write_b64 v3, v[204:205] offset:25216                   // 000000009ADC: D89A6280 0000CC03
	ds_write_b64 v3, v[206:207] offset:33920                   // 000000009AE4: D89A8480 0000CE03
	s_mov_b32 s80, 0                                           // 000000009AEC: BED00080
	s_waitcnt vmcnt(0) expcnt(0) lgkmcnt(0)                    // 000000009AF0: BF8C0000

0000000000009af4 <label_1B3D>:
	s_waitcnt vmcnt(25) lgkmcnt(0)                             // 000000009AF4: BF8C4079
	s_barrier                                                  // 000000009AF8: BF8A0000
	v_mfma_i32_16x16x32_i8 v[192:195], a[0:1], v[128:129], 0   // 000000009AFC: D3D700C0 0A030100
	buffer_load_dwordx4 a[128:131], v42, s[12:15], 0 offen     // 000000009B04: E05C1000 8083802A
	v_mfma_i32_16x16x32_i8 v[192:195], a[2:3], v[130:131], v[192:195]// 000000009B0C: D3D700C0 0F030502
	ds_read_b32 v64, v4 offset:18688                           // 000000009B14: D86C4900 40000004
	ds_read_b32 v65, v4 offset:23040                           // 000000009B1C: D86C5A00 41000004
	v_mfma_i32_16x16x32_i8 v[192:195], a[4:5], v[132:133], v[192:195]// 000000009B24: D3D700C0 0F030904
	v_mfma_i32_16x16x32_i8 v[192:195], a[6:7], v[134:135], v[192:195]// 000000009B2C: D3D700C0 0F030D06
	ds_read_b32 v66, v4 offset:18720                           // 000000009B34: D86C4920 42000004
	ds_read_b32 v67, v4 offset:23072                           // 000000009B3C: D86C5A20 43000004
	v_mfma_i32_16x16x32_i8 v[192:195], a[8:9], v[136:137], v[192:195]// 000000009B44: D3D700C0 0F031108
	buffer_load_dwordx4 a[132:135], v42, s[12:15], 0 offen offset:1024// 000000009B4C: E05C1400 8083842A
	v_mfma_i32_16x16x32_i8 v[192:195], a[10:11], v[138:139], v[192:195]// 000000009B54: D3D700C0 0F03150A
	ds_read_b32 v68, v4 offset:18752                           // 000000009B5C: D86C4940 44000004
	ds_read_b32 v69, v4 offset:23104                           // 000000009B64: D86C5A40 45000004
	v_mfma_i32_16x16x32_i8 v[192:195], a[12:13], v[140:141], v[192:195]// 000000009B6C: D3D700C0 0F03190C
	v_mfma_i32_16x16x32_i8 v[192:195], a[14:15], v[142:143], v[192:195]// 000000009B74: D3D700C0 0F031D0E
	ds_read_b32 v70, v4 offset:18784                           // 000000009B7C: D86C4960 46000004
	ds_read_b32 v71, v4 offset:23136                           // 000000009B84: D86C5A60 47000004
	v_mfma_i32_16x16x32_i8 v[196:199], a[0:1], v[160:161], 0   // 000000009B8C: D3D700C4 0A034100
	buffer_load_dwordx4 a[136:139], v42, s[12:15], 0 offen offset:2048// 000000009B94: E05C1800 8083882A
	v_mfma_i32_16x16x32_i8 v[196:199], a[2:3], v[162:163], v[196:199]// 000000009B9C: D3D700C4 0F134502
	ds_read_b32 v72, v4 offset:27392                           // 000000009BA4: D86C6B00 48000004
	ds_read_b32 v73, v4 offset:31744                           // 000000009BAC: D86C7C00 49000004
	v_mfma_i32_16x16x32_i8 v[196:199], a[4:5], v[164:165], v[196:199]// 000000009BB4: D3D700C4 0F134904
	v_mfma_i32_16x16x32_i8 v[196:199], a[6:7], v[166:167], v[196:199]// 000000009BBC: D3D700C4 0F134D06
	ds_read_b32 v74, v4 offset:27424                           // 000000009BC4: D86C6B20 4A000004
	ds_read_b32 v75, v4 offset:31776                           // 000000009BCC: D86C7C20 4B000004
	v_mfma_i32_16x16x32_i8 v[196:199], a[8:9], v[168:169], v[196:199]// 000000009BD4: D3D700C4 0F135108
	buffer_load_dwordx4 a[140:143], v42, s[12:15], 0 offen offset:3072// 000000009BDC: E05C1C00 80838C2A
	v_mfma_i32_16x16x32_i8 v[196:199], a[10:11], v[170:171], v[196:199]// 000000009BE4: D3D700C4 0F13550A
	ds_read_b32 v76, v4 offset:27456                           // 000000009BEC: D86C6B40 4C000004
	ds_read_b32 v77, v4 offset:31808                           // 000000009BF4: D86C7C40 4D000004
	v_mfma_i32_16x16x32_i8 v[196:199], a[12:13], v[172:173], v[196:199]// 000000009BFC: D3D700C4 0F13590C
	v_mfma_i32_16x16x32_i8 v[196:199], a[14:15], v[174:175], v[196:199]// 000000009C04: D3D700C4 0F135D0E
	ds_read_b32 v78, v4 offset:27488                           // 000000009C0C: D86C6B60 4E000004
	ds_read_b32 v79, v4 offset:31840                           // 000000009C14: D86C7C60 4F000004
	v_mfma_i32_16x16x32_i8 v[200:203], a[16:17], v[128:129], 0 // 000000009C1C: D3D700C8 0A030110
	buffer_load_dwordx4 a[144:147], v43, s[12:15], 0 offen     // 000000009C24: E05C1000 8083902B
	v_mfma_i32_16x16x32_i8 v[200:203], a[18:19], v[130:131], v[200:203]// 000000009C2C: D3D700C8 0F230512
	v_mfma_i32_16x16x32_i8 v[200:203], a[20:21], v[132:133], v[200:203]// 000000009C34: D3D700C8 0F230914
	v_mfma_i32_16x16x32_i8 v[200:203], a[22:23], v[134:135], v[200:203]// 000000009C3C: D3D700C8 0F230D16
	v_mfma_i32_16x16x32_i8 v[200:203], a[24:25], v[136:137], v[200:203]// 000000009C44: D3D700C8 0F231118
	buffer_load_dwordx4 a[148:151], v43, s[12:15], 0 offen offset:1024// 000000009C4C: E05C1400 8083942B
	v_mfma_i32_16x16x32_i8 v[200:203], a[26:27], v[138:139], v[200:203]// 000000009C54: D3D700C8 0F23151A
	v_mfma_i32_16x16x32_i8 v[200:203], a[28:29], v[140:141], v[200:203]// 000000009C5C: D3D700C8 0F23191C
	v_mfma_i32_16x16x32_i8 v[200:203], a[30:31], v[142:143], v[200:203]// 000000009C64: D3D700C8 0F231D1E
	v_mfma_i32_16x16x32_i8 v[204:207], a[16:17], v[160:161], 0 // 000000009C6C: D3D700CC 0A034110
	buffer_load_dwordx4 a[152:155], v43, s[12:15], 0 offen offset:2048// 000000009C74: E05C1800 8083982B
	v_mfma_i32_16x16x32_i8 v[204:207], a[18:19], v[162:163], v[204:207]// 000000009C7C: D3D700CC 0F334512
	v_mfma_i32_16x16x32_i8 v[204:207], a[20:21], v[164:165], v[204:207]// 000000009C84: D3D700CC 0F334914
	v_mfma_i32_16x16x32_i8 v[204:207], a[22:23], v[166:167], v[204:207]// 000000009C8C: D3D700CC 0F334D16
	v_mfma_i32_16x16x32_i8 v[204:207], a[24:25], v[168:169], v[204:207]// 000000009C94: D3D700CC 0F335118
	buffer_load_dwordx4 a[156:159], v43, s[12:15], 0 offen offset:3072// 000000009C9C: E05C1C00 80839C2B
	v_mfma_i32_16x16x32_i8 v[204:207], a[26:27], v[170:171], v[204:207]// 000000009CA4: D3D700CC 0F33551A
	v_mfma_i32_16x16x32_i8 v[204:207], a[28:29], v[172:173], v[204:207]// 000000009CAC: D3D700CC 0F33591C
	v_mfma_i32_16x16x32_i8 v[204:207], a[30:31], v[174:175], v[204:207]// 000000009CB4: D3D700CC 0F335D1E
	s_waitcnt vmcnt(25)                                        // 000000009CBC: BF8C4F79
	v_mfma_i32_16x16x32_i8 v[208:211], a[32:33], v[128:129], 0 // 000000009CC0: D3D700D0 0A030120
	buffer_load_dwordx4 a[160:163], v44, s[12:15], 0 offen     // 000000009CC8: E05C1000 8083A02C
	v_mfma_i32_16x16x32_i8 v[208:211], a[34:35], v[130:131], v[208:211]// 000000009CD0: D3D700D0 0F430522
	v_mfma_i32_16x16x32_i8 v[208:211], a[36:37], v[132:133], v[208:211]// 000000009CD8: D3D700D0 0F430924
	v_mfma_i32_16x16x32_i8 v[208:211], a[38:39], v[134:135], v[208:211]// 000000009CE0: D3D700D0 0F430D26
	v_mfma_i32_16x16x32_i8 v[208:211], a[40:41], v[136:137], v[208:211]// 000000009CE8: D3D700D0 0F431128
	buffer_load_dwordx4 a[164:167], v44, s[12:15], 0 offen offset:1024// 000000009CF0: E05C1400 8083A42C
	v_mfma_i32_16x16x32_i8 v[208:211], a[42:43], v[138:139], v[208:211]// 000000009CF8: D3D700D0 0F43152A
	v_mfma_i32_16x16x32_i8 v[208:211], a[44:45], v[140:141], v[208:211]// 000000009D00: D3D700D0 0F43192C
	v_mfma_i32_16x16x32_i8 v[208:211], a[46:47], v[142:143], v[208:211]// 000000009D08: D3D700D0 0F431D2E
	v_mfma_i32_16x16x32_i8 v[212:215], a[32:33], v[160:161], 0 // 000000009D10: D3D700D4 0A034120
	buffer_load_dwordx4 a[168:171], v44, s[12:15], 0 offen offset:2048// 000000009D18: E05C1800 8083A82C
	v_mfma_i32_16x16x32_i8 v[212:215], a[34:35], v[162:163], v[212:215]// 000000009D20: D3D700D4 0F534522
	v_mfma_i32_16x16x32_i8 v[212:215], a[36:37], v[164:165], v[212:215]// 000000009D28: D3D700D4 0F534924
	v_mfma_i32_16x16x32_i8 v[212:215], a[38:39], v[166:167], v[212:215]// 000000009D30: D3D700D4 0F534D26
	v_mfma_i32_16x16x32_i8 v[212:215], a[40:41], v[168:169], v[212:215]// 000000009D38: D3D700D4 0F535128
	buffer_load_dwordx4 a[172:175], v44, s[12:15], 0 offen offset:3072// 000000009D40: E05C1C00 8083AC2C
	v_mfma_i32_16x16x32_i8 v[212:215], a[42:43], v[170:171], v[212:215]// 000000009D48: D3D700D4 0F53552A
	v_mfma_i32_16x16x32_i8 v[212:215], a[44:45], v[172:173], v[212:215]// 000000009D50: D3D700D4 0F53592C
	v_mfma_i32_16x16x32_i8 v[212:215], a[46:47], v[174:175], v[212:215]// 000000009D58: D3D700D4 0F535D2E
	v_mfma_i32_16x16x32_i8 v[216:219], a[48:49], v[128:129], 0 // 000000009D60: D3D700D8 0A030130
	buffer_load_dwordx4 a[176:179], v45, s[12:15], 0 offen     // 000000009D68: E05C1000 8083B02D
	v_mfma_i32_16x16x32_i8 v[216:219], a[50:51], v[130:131], v[216:219]// 000000009D70: D3D700D8 0F630532
	v_mfma_i32_16x16x32_i8 v[216:219], a[52:53], v[132:133], v[216:219]// 000000009D78: D3D700D8 0F630934
	v_mfma_i32_16x16x32_i8 v[216:219], a[54:55], v[134:135], v[216:219]// 000000009D80: D3D700D8 0F630D36
	v_mfma_i32_16x16x32_i8 v[216:219], a[56:57], v[136:137], v[216:219]// 000000009D88: D3D700D8 0F631138
	buffer_load_dwordx4 a[180:183], v45, s[12:15], 0 offen offset:1024// 000000009D90: E05C1400 8083B42D
	v_mfma_i32_16x16x32_i8 v[216:219], a[58:59], v[138:139], v[216:219]// 000000009D98: D3D700D8 0F63153A
	v_mfma_i32_16x16x32_i8 v[216:219], a[60:61], v[140:141], v[216:219]// 000000009DA0: D3D700D8 0F63193C
	v_mfma_i32_16x16x32_i8 v[216:219], a[62:63], v[142:143], v[216:219]// 000000009DA8: D3D700D8 0F631D3E
	v_mfma_i32_16x16x32_i8 v[220:223], a[48:49], v[160:161], 0 // 000000009DB0: D3D700DC 0A034130
	buffer_load_dwordx4 a[184:187], v45, s[12:15], 0 offen offset:2048// 000000009DB8: E05C1800 8083B82D
	v_mfma_i32_16x16x32_i8 v[220:223], a[50:51], v[162:163], v[220:223]// 000000009DC0: D3D700DC 0F734532
	v_mfma_i32_16x16x32_i8 v[220:223], a[52:53], v[164:165], v[220:223]// 000000009DC8: D3D700DC 0F734934
	v_mfma_i32_16x16x32_i8 v[220:223], a[54:55], v[166:167], v[220:223]// 000000009DD0: D3D700DC 0F734D36
	v_mfma_i32_16x16x32_i8 v[220:223], a[56:57], v[168:169], v[220:223]// 000000009DD8: D3D700DC 0F735138
	buffer_load_dwordx4 a[188:191], v45, s[12:15], 0 offen offset:3072// 000000009DE0: E05C1C00 8083BC2D
	s_add_u32 s12, s78, s12                                    // 000000009DE8: 800C0C4E
	s_addc_u32 s13, 0, s13                                     // 000000009DEC: 820D0D80
	v_mfma_i32_16x16x32_i8 v[220:223], a[58:59], v[170:171], v[220:223]// 000000009DF0: D3D700DC 0F73553A
	v_mfma_i32_16x16x32_i8 v[220:223], a[60:61], v[172:173], v[220:223]// 000000009DF8: D3D700DC 0F73593C
	v_mfma_i32_16x16x32_i8 v[220:223], a[62:63], v[174:175], v[220:223]// 000000009E00: D3D700DC 0F735D3E
	s_waitcnt vmcnt(25)                                        // 000000009E08: BF8C4F79
	v_mfma_i32_16x16x32_i8 v[192:195], a[64:65], v[144:145], v[192:195]// 000000009E0C: D3D700C0 0F032140
	buffer_load_dwordx4 a[192:195], v42, s[12:15], 0 offen     // 000000009E14: E05C1000 8083C02A
	v_mfma_i32_16x16x32_i8 v[192:195], a[66:67], v[146:147], v[192:195]// 000000009E1C: D3D700C0 0F032542
	ds_write_b64 v3, v[224:225] offset:36096                   // 000000009E24: D89A8D00 0000E003
	v_mfma_i32_16x16x32_i8 v[192:195], a[68:69], v[148:149], v[192:195]// 000000009E2C: D3D700C0 0F032944
	v_mfma_i32_16x16x32_i8 v[192:195], a[70:71], v[150:151], v[192:195]// 000000009E34: D3D700C0 0F032D46
	ds_write_b64 v3, v[226:227] offset:44800                   // 000000009E3C: D89AAF00 0000E203
	v_mfma_i32_16x16x32_i8 v[192:195], a[72:73], v[152:153], v[192:195]// 000000009E44: D3D700C0 0F033148
	buffer_load_dwordx4 a[196:199], v42, s[12:15], 0 offen offset:1024// 000000009E4C: E05C1400 8083C42A
	v_mfma_i32_16x16x32_i8 v[192:195], a[74:75], v[154:155], v[192:195]// 000000009E54: D3D700C0 0F03354A
	ds_write_b64 v3, v[228:229] offset:38272                   // 000000009E5C: D89A9580 0000E403
	v_mfma_i32_16x16x32_i8 v[192:195], a[76:77], v[156:157], v[192:195]// 000000009E64: D3D700C0 0F03394C
	v_mfma_i32_16x16x32_i8 v[192:195], a[78:79], v[158:159], v[192:195]// 000000009E6C: D3D700C0 0F033D4E
	ds_write_b64 v3, v[230:231] offset:46976                   // 000000009E74: D89AB780 0000E603
	v_mfma_i32_16x16x32_i8 v[196:199], a[64:65], v[176:177], v[196:199]// 000000009E7C: D3D700C4 0F136140
	buffer_load_dwordx4 a[200:203], v42, s[12:15], 0 offen offset:2048// 000000009E84: E05C1800 8083C82A
	v_mfma_i32_16x16x32_i8 v[196:199], a[66:67], v[178:179], v[196:199]// 000000009E8C: D3D700C4 0F136542
	ds_write_b64 v3, v[232:233] offset:40448                   // 000000009E94: D89A9E00 0000E803
	v_mfma_i32_16x16x32_i8 v[196:199], a[68:69], v[180:181], v[196:199]// 000000009E9C: D3D700C4 0F136944
	v_mfma_i32_16x16x32_i8 v[196:199], a[70:71], v[182:183], v[196:199]// 000000009EA4: D3D700C4 0F136D46
	ds_write_b64 v3, v[234:235] offset:49152                   // 000000009EAC: D89AC000 0000EA03
	v_mfma_i32_16x16x32_i8 v[196:199], a[72:73], v[184:185], v[196:199]// 000000009EB4: D3D700C4 0F137148
	buffer_load_dwordx4 a[204:207], v42, s[12:15], 0 offen offset:3072// 000000009EBC: E05C1C00 8083CC2A
	v_mfma_i32_16x16x32_i8 v[196:199], a[74:75], v[186:187], v[196:199]// 000000009EC4: D3D700C4 0F13754A
	ds_write_b64 v3, v[236:237] offset:42624                   // 000000009ECC: D89AA680 0000EC03
	v_mfma_i32_16x16x32_i8 v[196:199], a[76:77], v[188:189], v[196:199]// 000000009ED4: D3D700C4 0F13794C
	v_mfma_i32_16x16x32_i8 v[196:199], a[78:79], v[190:191], v[196:199]// 000000009EDC: D3D700C4 0F137D4E
	ds_write_b64 v3, v[238:239] offset:51328                   // 000000009EE4: D89AC880 0000EE03
	v_mfma_i32_16x16x32_i8 v[200:203], a[80:81], v[144:145], v[200:203]// 000000009EEC: D3D700C8 0F232150
	buffer_load_dwordx4 a[208:211], v43, s[12:15], 0 offen     // 000000009EF4: E05C1000 8083D02B
	v_mfma_i32_16x16x32_i8 v[200:203], a[82:83], v[146:147], v[200:203]// 000000009EFC: D3D700C8 0F232552
	v_mfma_i32_16x16x32_i8 v[200:203], a[84:85], v[148:149], v[200:203]// 000000009F04: D3D700C8 0F232954
	v_mfma_i32_16x16x32_i8 v[200:203], a[86:87], v[150:151], v[200:203]// 000000009F0C: D3D700C8 0F232D56
	v_mfma_i32_16x16x32_i8 v[200:203], a[88:89], v[152:153], v[200:203]// 000000009F14: D3D700C8 0F233158
	buffer_load_dwordx4 a[212:215], v43, s[12:15], 0 offen offset:1024// 000000009F1C: E05C1400 8083D42B
	v_mfma_i32_16x16x32_i8 v[200:203], a[90:91], v[154:155], v[200:203]// 000000009F24: D3D700C8 0F23355A
	v_mfma_i32_16x16x32_i8 v[200:203], a[92:93], v[156:157], v[200:203]// 000000009F2C: D3D700C8 0F23395C
	v_mfma_i32_16x16x32_i8 v[200:203], a[94:95], v[158:159], v[200:203]// 000000009F34: D3D700C8 0F233D5E
	v_mfma_i32_16x16x32_i8 v[204:207], a[80:81], v[176:177], v[204:207]// 000000009F3C: D3D700CC 0F336150
	buffer_load_dwordx4 a[216:219], v43, s[12:15], 0 offen offset:2048// 000000009F44: E05C1800 8083D82B
	v_mfma_i32_16x16x32_i8 v[204:207], a[82:83], v[178:179], v[204:207]// 000000009F4C: D3D700CC 0F336552
	v_mfma_i32_16x16x32_i8 v[204:207], a[84:85], v[180:181], v[204:207]// 000000009F54: D3D700CC 0F336954
	v_mfma_i32_16x16x32_i8 v[204:207], a[86:87], v[182:183], v[204:207]// 000000009F5C: D3D700CC 0F336D56
	v_mfma_i32_16x16x32_i8 v[204:207], a[88:89], v[184:185], v[204:207]// 000000009F64: D3D700CC 0F337158
	buffer_load_dwordx4 a[220:223], v43, s[12:15], 0 offen offset:3072// 000000009F6C: E05C1C00 8083DC2B
	v_mfma_i32_16x16x32_i8 v[204:207], a[90:91], v[186:187], v[204:207]// 000000009F74: D3D700CC 0F33755A
	v_mfma_i32_16x16x32_i8 v[204:207], a[92:93], v[188:189], v[204:207]// 000000009F7C: D3D700CC 0F33795C
	v_mfma_i32_16x16x32_i8 v[204:207], a[94:95], v[190:191], v[204:207]// 000000009F84: D3D700CC 0F337D5E
	s_waitcnt vmcnt(24)                                        // 000000009F8C: BF8C4F78
	v_mfma_i32_16x16x32_i8 v[208:211], a[96:97], v[144:145], v[208:211]// 000000009F90: D3D700D0 0F432160
	buffer_load_dwordx4 a[224:227], v44, s[12:15], 0 offen     // 000000009F98: E05C1000 8083E02C
	v_mfma_i32_16x16x32_i8 v[208:211], a[98:99], v[146:147], v[208:211]// 000000009FA0: D3D700D0 0F432562
	v_mfma_i32_16x16x32_i8 v[208:211], a[100:101], v[148:149], v[208:211]// 000000009FA8: D3D700D0 0F432964
	buffer_load_dword v13, v5, s[16:19], 0 offen               // 000000009FB0: E0501000 80040D05
	v_mfma_i32_16x16x32_i8 v[208:211], a[102:103], v[150:151], v[208:211]// 000000009FB8: D3D700D0 0F432D66
	v_mfma_i32_16x16x32_i8 v[208:211], a[104:105], v[152:153], v[208:211]// 000000009FC0: D3D700D0 0F433168
	buffer_load_dwordx4 a[228:231], v44, s[12:15], 0 offen offset:1024// 000000009FC8: E05C1400 8083E42C
	v_mfma_i32_16x16x32_i8 v[208:211], a[106:107], v[154:155], v[208:211]// 000000009FD0: D3D700D0 0F43356A
	v_mfma_i32_16x16x32_i8 v[208:211], a[108:109], v[156:157], v[208:211]// 000000009FD8: D3D700D0 0F43396C
	v_mfma_i32_16x16x32_i8 v[208:211], a[110:111], v[158:159], v[208:211]// 000000009FE0: D3D700D0 0F433D6E
	v_mfma_i32_16x16x32_i8 v[212:215], a[96:97], v[176:177], v[212:215]// 000000009FE8: D3D700D4 0F536160
	buffer_load_dwordx4 a[232:235], v44, s[12:15], 0 offen offset:2048// 000000009FF0: E05C1800 8083E82C
	v_mfma_i32_16x16x32_i8 v[212:215], a[98:99], v[178:179], v[212:215]// 000000009FF8: D3D700D4 0F536562
	v_mfma_i32_16x16x32_i8 v[212:215], a[100:101], v[180:181], v[212:215]// 00000000A000: D3D700D4 0F536964
	s_add_u32 s60, 0x200, s80                                  // 00000000A008: 803C50FF 00000200
	s_cmp_lt_u32 s60, s81                                      // 00000000A010: BF0A513C
	v_mfma_i32_16x16x32_i8 v[212:215], a[102:103], v[182:183], v[212:215]// 00000000A014: D3D700D4 0F536D66
	s_cselect_b32 s56, s56, 0                                  // 00000000A01C: 85388038
	s_cselect_b32 s78, s78, 0                                  // 00000000A020: 854E804E
	s_cselect_b32 s79, s79, 0                                  // 00000000A024: 854F804F
	v_mfma_i32_16x16x32_i8 v[212:215], a[104:105], v[184:185], v[212:215]// 00000000A028: D3D700D4 0F537168
	buffer_load_dwordx4 a[236:239], v44, s[12:15], 0 offen offset:3072// 00000000A030: E05C1C00 8083EC2C
	v_mfma_i32_16x16x32_i8 v[212:215], a[106:107], v[186:187], v[212:215]// 00000000A038: D3D700D4 0F53756A
	v_mfma_i32_16x16x32_i8 v[212:215], a[108:109], v[188:189], v[212:215]// 00000000A040: D3D700D4 0F53796C
	s_add_u32 s16, s79, s16                                    // 00000000A048: 8010104F
	s_addc_u32 s17, 0, s17                                     // 00000000A04C: 82111180
	v_mfma_i32_16x16x32_i8 v[212:215], a[110:111], v[190:191], v[212:215]// 00000000A050: D3D700D4 0F537D6E
	v_mfma_i32_16x16x32_i8 v[216:219], a[112:113], v[144:145], v[216:219]// 00000000A058: D3D700D8 0F632170
	buffer_load_dwordx4 a[240:243], v45, s[12:15], 0 offen     // 00000000A060: E05C1000 8083F02D
	v_mfma_i32_16x16x32_i8 v[216:219], a[114:115], v[146:147], v[216:219]// 00000000A068: D3D700D8 0F632572
	v_mfma_i32_16x16x32_i8 v[216:219], a[116:117], v[148:149], v[216:219]// 00000000A070: D3D700D8 0F632974
	v_mfma_i32_16x16x32_i8 v[216:219], a[118:119], v[150:151], v[216:219]// 00000000A078: D3D700D8 0F632D76
	v_mfma_i32_16x16x32_i8 v[216:219], a[120:121], v[152:153], v[216:219]// 00000000A080: D3D700D8 0F633178
	buffer_load_dwordx4 a[244:247], v45, s[12:15], 0 offen offset:1024// 00000000A088: E05C1400 8083F42D
	v_mfma_i32_16x16x32_i8 v[216:219], a[122:123], v[154:155], v[216:219]// 00000000A090: D3D700D8 0F63357A
	v_mfma_i32_16x16x32_i8 v[216:219], a[124:125], v[156:157], v[216:219]// 00000000A098: D3D700D8 0F63397C
	v_mfma_i32_16x16x32_i8 v[216:219], a[126:127], v[158:159], v[216:219]// 00000000A0A0: D3D700D8 0F633D7E
	v_mfma_i32_16x16x32_i8 v[220:223], a[112:113], v[176:177], v[220:223]// 00000000A0A8: D3D700DC 0F736170
	buffer_load_dwordx4 a[248:251], v45, s[12:15], 0 offen offset:2048// 00000000A0B0: E05C1800 8083F82D
	v_mfma_i32_16x16x32_i8 v[220:223], a[114:115], v[178:179], v[220:223]// 00000000A0B8: D3D700DC 0F736572
	v_mfma_i32_16x16x32_i8 v[220:223], a[116:117], v[180:181], v[220:223]// 00000000A0C0: D3D700DC 0F736974
	v_mfma_i32_16x16x32_i8 v[220:223], a[118:119], v[182:183], v[220:223]// 00000000A0C8: D3D700DC 0F736D76
	v_mfma_i32_16x16x32_i8 v[220:223], a[120:121], v[184:185], v[220:223]// 00000000A0D0: D3D700DC 0F737178
	buffer_load_dwordx4 a[252:255], v45, s[12:15], 0 offen offset:3072// 00000000A0D8: E05C1C00 8083FC2D
	v_mfma_i32_16x16x32_i8 v[220:223], a[122:123], v[186:187], v[220:223]// 00000000A0E0: D3D700DC 0F73757A
	v_mfma_i32_16x16x32_i8 v[220:223], a[124:125], v[188:189], v[220:223]// 00000000A0E8: D3D700DC 0F73797C
	s_add_u32 s12, s56, s12                                    // 00000000A0F0: 800C0C38
	s_addc_u32 s13, 0, s13                                     // 00000000A0F4: 820D0D80
	v_mfma_i32_16x16x32_i8 v[220:223], a[126:127], v[190:191], v[220:223]// 00000000A0F8: D3D700DC 0F737D7E
	v_mov_b32_e32 v96, v24                                     // 00000000A100: 7EC00318
	v_mov_b32_e32 v100, v20                                    // 00000000A104: 7EC80314
	v_mov_b32_e32 v97, v24                                     // 00000000A108: 7EC20318
	v_mov_b32_e32 v101, v20                                    // 00000000A10C: 7ECA0314
	v_mov_b32_e32 v98, v25                                     // 00000000A110: 7EC40319
	v_mov_b32_e32 v102, v21                                    // 00000000A114: 7ECC0315
	v_mov_b32_e32 v99, v25                                     // 00000000A118: 7EC60319
	v_mov_b32_e32 v103, v21                                    // 00000000A11C: 7ECE0315
	v_cvt_f32_i32_e32 v192, v192                               // 00000000A120: 7F800BC0
	v_cvt_f32_i32_e32 v193, v193                               // 00000000A124: 7F820BC1
	v_cvt_f32_i32_e32 v194, v194                               // 00000000A128: 7F840BC2
	v_cvt_f32_i32_e32 v195, v195                               // 00000000A12C: 7F860BC3
	v_pk_mul_f32 v[192:193], v[96:97], v[192:193]              // 00000000A130: D3B140C0 18038160
	v_pk_mul_f32 v[194:195], v[96:97], v[194:195]              // 00000000A138: D3B140C2 18038560
	v_mul_f32_dpp v192, v12, v192 row_newbcast:0 row_mask:0xf bank_mask:0xf// 00000000A140: 0B8180FA FF01500C
	v_mul_f32_dpp v193, v12, v193 row_newbcast:1 row_mask:0xf bank_mask:0xf// 00000000A148: 0B8382FA FF01510C
	v_mul_f32_dpp v194, v12, v194 row_newbcast:2 row_mask:0xf bank_mask:0xf// 00000000A150: 0B8584FA FF01520C
	v_mul_f32_dpp v195, v12, v195 row_newbcast:3 row_mask:0xf bank_mask:0xf// 00000000A158: 0B8786FA FF01530C
	v_pk_mul_f32 v[192:193], v[100:101], v[192:193]            // 00000000A160: D3B140C0 18038164
	v_pk_mul_f32 v[194:195], v[100:101], v[194:195]            // 00000000A168: D3B140C2 18038564
	v_cvt_f32_i32_e32 v196, v196                               // 00000000A170: 7F880BC4
	v_cvt_f32_i32_e32 v197, v197                               // 00000000A174: 7F8A0BC5
	v_cvt_f32_i32_e32 v198, v198                               // 00000000A178: 7F8C0BC6
	v_cvt_f32_i32_e32 v199, v199                               // 00000000A17C: 7F8E0BC7
	v_pk_mul_f32 v[196:197], v[98:99], v[196:197]              // 00000000A180: D3B140C4 18038962
	v_pk_mul_f32 v[198:199], v[98:99], v[198:199]              // 00000000A188: D3B140C6 18038D62
	v_mul_f32_dpp v196, v12, v196 row_newbcast:0 row_mask:0xf bank_mask:0xf// 00000000A190: 0B8988FA FF01500C
	v_mul_f32_dpp v197, v12, v197 row_newbcast:1 row_mask:0xf bank_mask:0xf// 00000000A198: 0B8B8AFA FF01510C
	v_mul_f32_dpp v198, v12, v198 row_newbcast:2 row_mask:0xf bank_mask:0xf// 00000000A1A0: 0B8D8CFA FF01520C
	v_mul_f32_dpp v199, v12, v199 row_newbcast:3 row_mask:0xf bank_mask:0xf// 00000000A1A8: 0B8F8EFA FF01530C
	v_pk_mul_f32 v[196:197], v[102:103], v[196:197]            // 00000000A1B0: D3B140C4 18038966
	v_pk_mul_f32 v[198:199], v[102:103], v[198:199]            // 00000000A1B8: D3B140C6 18038D66
	v_cvt_f32_i32_e32 v200, v200                               // 00000000A1C0: 7F900BC8
	v_cvt_f32_i32_e32 v201, v201                               // 00000000A1C4: 7F920BC9
	v_cvt_f32_i32_e32 v202, v202                               // 00000000A1C8: 7F940BCA
	v_cvt_f32_i32_e32 v203, v203                               // 00000000A1CC: 7F960BCB
	v_pk_mul_f32 v[200:201], v[96:97], v[200:201]              // 00000000A1D0: D3B140C8 18039160
	v_pk_mul_f32 v[202:203], v[96:97], v[202:203]              // 00000000A1D8: D3B140CA 18039560
	v_mul_f32_dpp v200, v12, v200 row_newbcast:4 row_mask:0xf bank_mask:0xf// 00000000A1E0: 0B9190FA FF01540C
	v_mul_f32_dpp v201, v12, v201 row_newbcast:5 row_mask:0xf bank_mask:0xf// 00000000A1E8: 0B9392FA FF01550C
	v_mul_f32_dpp v202, v12, v202 row_newbcast:6 row_mask:0xf bank_mask:0xf// 00000000A1F0: 0B9594FA FF01560C
	v_mul_f32_dpp v203, v12, v203 row_newbcast:7 row_mask:0xf bank_mask:0xf// 00000000A1F8: 0B9796FA FF01570C
	v_pk_mul_f32 v[200:201], v[100:101], v[200:201]            // 00000000A200: D3B140C8 18039164
	v_pk_mul_f32 v[202:203], v[100:101], v[202:203]            // 00000000A208: D3B140CA 18039564
	v_cvt_f32_i32_e32 v204, v204                               // 00000000A210: 7F980BCC
	v_cvt_f32_i32_e32 v205, v205                               // 00000000A214: 7F9A0BCD
	v_cvt_f32_i32_e32 v206, v206                               // 00000000A218: 7F9C0BCE
	v_cvt_f32_i32_e32 v207, v207                               // 00000000A21C: 7F9E0BCF
	v_pk_mul_f32 v[204:205], v[98:99], v[204:205]              // 00000000A220: D3B140CC 18039962
	v_pk_mul_f32 v[206:207], v[98:99], v[206:207]              // 00000000A228: D3B140CE 18039D62
	v_mul_f32_dpp v204, v12, v204 row_newbcast:4 row_mask:0xf bank_mask:0xf// 00000000A230: 0B9998FA FF01540C
	v_mul_f32_dpp v205, v12, v205 row_newbcast:5 row_mask:0xf bank_mask:0xf// 00000000A238: 0B9B9AFA FF01550C
	v_mul_f32_dpp v206, v12, v206 row_newbcast:6 row_mask:0xf bank_mask:0xf// 00000000A240: 0B9D9CFA FF01560C
	v_mul_f32_dpp v207, v12, v207 row_newbcast:7 row_mask:0xf bank_mask:0xf// 00000000A248: 0B9F9EFA FF01570C
	v_pk_mul_f32 v[204:205], v[102:103], v[204:205]            // 00000000A250: D3B140CC 18039966
	v_pk_mul_f32 v[206:207], v[102:103], v[206:207]            // 00000000A258: D3B140CE 18039D66
	v_cvt_f32_i32_e32 v208, v208                               // 00000000A260: 7FA00BD0
	v_cvt_f32_i32_e32 v209, v209                               // 00000000A264: 7FA20BD1
	v_cvt_f32_i32_e32 v210, v210                               // 00000000A268: 7FA40BD2
	v_cvt_f32_i32_e32 v211, v211                               // 00000000A26C: 7FA60BD3
	v_pk_mul_f32 v[208:209], v[96:97], v[208:209]              // 00000000A270: D3B140D0 1803A160
	v_pk_mul_f32 v[210:211], v[96:97], v[210:211]              // 00000000A278: D3B140D2 1803A560
	v_mul_f32_dpp v208, v12, v208 row_newbcast:8 row_mask:0xf bank_mask:0xf// 00000000A280: 0BA1A0FA FF01580C
	v_mul_f32_dpp v209, v12, v209 row_newbcast:9 row_mask:0xf bank_mask:0xf// 00000000A288: 0BA3A2FA FF01590C
	v_mul_f32_dpp v210, v12, v210 row_newbcast:10 row_mask:0xf bank_mask:0xf// 00000000A290: 0BA5A4FA FF015A0C
	v_mul_f32_dpp v211, v12, v211 row_newbcast:11 row_mask:0xf bank_mask:0xf// 00000000A298: 0BA7A6FA FF015B0C
	v_pk_mul_f32 v[208:209], v[100:101], v[208:209]            // 00000000A2A0: D3B140D0 1803A164
	v_pk_mul_f32 v[210:211], v[100:101], v[210:211]            // 00000000A2A8: D3B140D2 1803A564
	v_cvt_f32_i32_e32 v212, v212                               // 00000000A2B0: 7FA80BD4
	v_cvt_f32_i32_e32 v213, v213                               // 00000000A2B4: 7FAA0BD5
	v_cvt_f32_i32_e32 v214, v214                               // 00000000A2B8: 7FAC0BD6
	v_cvt_f32_i32_e32 v215, v215                               // 00000000A2BC: 7FAE0BD7
	v_pk_mul_f32 v[212:213], v[98:99], v[212:213]              // 00000000A2C0: D3B140D4 1803A962
	v_pk_mul_f32 v[214:215], v[98:99], v[214:215]              // 00000000A2C8: D3B140D6 1803AD62
	v_mul_f32_dpp v212, v12, v212 row_newbcast:8 row_mask:0xf bank_mask:0xf// 00000000A2D0: 0BA9A8FA FF01580C
	v_mul_f32_dpp v213, v12, v213 row_newbcast:9 row_mask:0xf bank_mask:0xf// 00000000A2D8: 0BABAAFA FF01590C
	v_mul_f32_dpp v214, v12, v214 row_newbcast:10 row_mask:0xf bank_mask:0xf// 00000000A2E0: 0BADACFA FF015A0C
	v_mul_f32_dpp v215, v12, v215 row_newbcast:11 row_mask:0xf bank_mask:0xf// 00000000A2E8: 0BAFAEFA FF015B0C
	v_pk_mul_f32 v[212:213], v[102:103], v[212:213]            // 00000000A2F0: D3B140D4 1803A966
	v_pk_mul_f32 v[214:215], v[102:103], v[214:215]            // 00000000A2F8: D3B140D6 1803AD66
	v_cvt_f32_i32_e32 v216, v216                               // 00000000A300: 7FB00BD8
	v_cvt_f32_i32_e32 v217, v217                               // 00000000A304: 7FB20BD9
	v_cvt_f32_i32_e32 v218, v218                               // 00000000A308: 7FB40BDA
	v_cvt_f32_i32_e32 v219, v219                               // 00000000A30C: 7FB60BDB
	v_pk_mul_f32 v[216:217], v[96:97], v[216:217]              // 00000000A310: D3B140D8 1803B160
	v_pk_mul_f32 v[218:219], v[96:97], v[218:219]              // 00000000A318: D3B140DA 1803B560
	v_mul_f32_dpp v216, v12, v216 row_newbcast:12 row_mask:0xf bank_mask:0xf// 00000000A320: 0BB1B0FA FF015C0C
	v_mul_f32_dpp v217, v12, v217 row_newbcast:13 row_mask:0xf bank_mask:0xf// 00000000A328: 0BB3B2FA FF015D0C
	v_mul_f32_dpp v218, v12, v218 row_newbcast:14 row_mask:0xf bank_mask:0xf// 00000000A330: 0BB5B4FA FF015E0C
	v_mul_f32_dpp v219, v12, v219 row_newbcast:15 row_mask:0xf bank_mask:0xf// 00000000A338: 0BB7B6FA FF015F0C
	v_pk_mul_f32 v[216:217], v[100:101], v[216:217]            // 00000000A340: D3B140D8 1803B164
	v_pk_mul_f32 v[218:219], v[100:101], v[218:219]            // 00000000A348: D3B140DA 1803B564
	v_cvt_f32_i32_e32 v220, v220                               // 00000000A350: 7FB80BDC
	v_cvt_f32_i32_e32 v221, v221                               // 00000000A354: 7FBA0BDD
	v_cvt_f32_i32_e32 v222, v222                               // 00000000A358: 7FBC0BDE
	v_cvt_f32_i32_e32 v223, v223                               // 00000000A35C: 7FBE0BDF
	v_pk_mul_f32 v[220:221], v[98:99], v[220:221]              // 00000000A360: D3B140DC 1803B962
	v_pk_mul_f32 v[222:223], v[98:99], v[222:223]              // 00000000A368: D3B140DE 1803BD62
	v_mul_f32_dpp v220, v12, v220 row_newbcast:12 row_mask:0xf bank_mask:0xf// 00000000A370: 0BB9B8FA FF015C0C
	v_mul_f32_dpp v221, v12, v221 row_newbcast:13 row_mask:0xf bank_mask:0xf// 00000000A378: 0BBBBAFA FF015D0C
	v_mul_f32_dpp v222, v12, v222 row_newbcast:14 row_mask:0xf bank_mask:0xf// 00000000A380: 0BBDBCFA FF015E0C
	v_mul_f32_dpp v223, v12, v223 row_newbcast:15 row_mask:0xf bank_mask:0xf// 00000000A388: 0BBFBEFA FF015F0C
	v_pk_mul_f32 v[220:221], v[102:103], v[220:221]            // 00000000A390: D3B140DC 1803B966
	v_pk_mul_f32 v[222:223], v[102:103], v[222:223]            // 00000000A398: D3B140DE 1803BD66
	v_cmp_u_f32_e64 s[48:49], v192, v192                       // 00000000A3A0: D0480030 000381C0
	v_add3_u32 v50, v192, v53, 1                               // 00000000A3A8: D1FF0032 02066BC0
	v_cndmask_b32_e64 v54, v50, v52, s[48:49]                  // 00000000A3B0: D1000036 00C26932
	v_cmp_u_f32_e64 s[48:49], v193, v193                       // 00000000A3B8: D0480030 000383C1
	v_add3_u32 v50, v193, v53, 1                               // 00000000A3C0: D1FF0032 02066BC1
	v_cndmask_b32_e64 v55, v50, v52, s[48:49]                  // 00000000A3C8: D1000037 00C26932
	v_perm_b32 v192, v55, v54, s52                             // 00000000A3D0: D1ED00C0 00D26D37
	v_cmp_u_f32_e64 s[48:49], v194, v194                       // 00000000A3D8: D0480030 000385C2
	v_add3_u32 v50, v194, v53, 1                               // 00000000A3E0: D1FF0032 02066BC2
	v_cndmask_b32_e64 v54, v50, v52, s[48:49]                  // 00000000A3E8: D1000036 00C26932
	v_cmp_u_f32_e64 s[48:49], v195, v195                       // 00000000A3F0: D0480030 000387C3
	v_add3_u32 v50, v195, v53, 1                               // 00000000A3F8: D1FF0032 02066BC3
	v_cndmask_b32_e64 v55, v50, v52, s[48:49]                  // 00000000A400: D1000037 00C26932
	v_perm_b32 v193, v55, v54, s52                             // 00000000A408: D1ED00C1 00D26D37
	v_cmp_u_f32_e64 s[48:49], v196, v196                       // 00000000A410: D0480030 000389C4
	v_add3_u32 v50, v196, v53, 1                               // 00000000A418: D1FF0032 02066BC4
	v_cndmask_b32_e64 v54, v50, v52, s[48:49]                  // 00000000A420: D1000036 00C26932
	v_cmp_u_f32_e64 s[48:49], v197, v197                       // 00000000A428: D0480030 00038BC5
	v_add3_u32 v50, v197, v53, 1                               // 00000000A430: D1FF0032 02066BC5
	v_cndmask_b32_e64 v55, v50, v52, s[48:49]                  // 00000000A438: D1000037 00C26932
	v_perm_b32 v194, v55, v54, s52                             // 00000000A440: D1ED00C2 00D26D37
	v_cmp_u_f32_e64 s[48:49], v198, v198                       // 00000000A448: D0480030 00038DC6
	v_add3_u32 v50, v198, v53, 1                               // 00000000A450: D1FF0032 02066BC6
	v_cndmask_b32_e64 v54, v50, v52, s[48:49]                  // 00000000A458: D1000036 00C26932
	v_cmp_u_f32_e64 s[48:49], v199, v199                       // 00000000A460: D0480030 00038FC7
	v_add3_u32 v50, v199, v53, 1                               // 00000000A468: D1FF0032 02066BC7
	v_cndmask_b32_e64 v55, v50, v52, s[48:49]                  // 00000000A470: D1000037 00C26932
	v_perm_b32 v195, v55, v54, s52                             // 00000000A478: D1ED00C3 00D26D37
	v_cmp_u_f32_e64 s[48:49], v200, v200                       // 00000000A480: D0480030 000391C8
	v_add3_u32 v50, v200, v53, 1                               // 00000000A488: D1FF0032 02066BC8
	v_cndmask_b32_e64 v54, v50, v52, s[48:49]                  // 00000000A490: D1000036 00C26932
	v_cmp_u_f32_e64 s[48:49], v201, v201                       // 00000000A498: D0480030 000393C9
	v_add3_u32 v50, v201, v53, 1                               // 00000000A4A0: D1FF0032 02066BC9
	v_cndmask_b32_e64 v55, v50, v52, s[48:49]                  // 00000000A4A8: D1000037 00C26932
	v_perm_b32 v196, v55, v54, s52                             // 00000000A4B0: D1ED00C4 00D26D37
	v_cmp_u_f32_e64 s[48:49], v202, v202                       // 00000000A4B8: D0480030 000395CA
	v_add3_u32 v50, v202, v53, 1                               // 00000000A4C0: D1FF0032 02066BCA
	v_cndmask_b32_e64 v54, v50, v52, s[48:49]                  // 00000000A4C8: D1000036 00C26932
	v_cmp_u_f32_e64 s[48:49], v203, v203                       // 00000000A4D0: D0480030 000397CB
	v_add3_u32 v50, v203, v53, 1                               // 00000000A4D8: D1FF0032 02066BCB
	v_cndmask_b32_e64 v55, v50, v52, s[48:49]                  // 00000000A4E0: D1000037 00C26932
	v_perm_b32 v197, v55, v54, s52                             // 00000000A4E8: D1ED00C5 00D26D37
	v_cmp_u_f32_e64 s[48:49], v204, v204                       // 00000000A4F0: D0480030 000399CC
	v_add3_u32 v50, v204, v53, 1                               // 00000000A4F8: D1FF0032 02066BCC
	v_cndmask_b32_e64 v54, v50, v52, s[48:49]                  // 00000000A500: D1000036 00C26932
	v_cmp_u_f32_e64 s[48:49], v205, v205                       // 00000000A508: D0480030 00039BCD
	v_add3_u32 v50, v205, v53, 1                               // 00000000A510: D1FF0032 02066BCD
	v_cndmask_b32_e64 v55, v50, v52, s[48:49]                  // 00000000A518: D1000037 00C26932
	v_perm_b32 v198, v55, v54, s52                             // 00000000A520: D1ED00C6 00D26D37
	v_cmp_u_f32_e64 s[48:49], v206, v206                       // 00000000A528: D0480030 00039DCE
	v_add3_u32 v50, v206, v53, 1                               // 00000000A530: D1FF0032 02066BCE
	v_cndmask_b32_e64 v54, v50, v52, s[48:49]                  // 00000000A538: D1000036 00C26932
	v_cmp_u_f32_e64 s[48:49], v207, v207                       // 00000000A540: D0480030 00039FCF
	v_add3_u32 v50, v207, v53, 1                               // 00000000A548: D1FF0032 02066BCF
	v_cndmask_b32_e64 v55, v50, v52, s[48:49]                  // 00000000A550: D1000037 00C26932
	v_perm_b32 v199, v55, v54, s52                             // 00000000A558: D1ED00C7 00D26D37
	v_cmp_u_f32_e64 s[48:49], v208, v208                       // 00000000A560: D0480030 0003A1D0
	v_add3_u32 v50, v208, v53, 1                               // 00000000A568: D1FF0032 02066BD0
	v_cndmask_b32_e64 v54, v50, v52, s[48:49]                  // 00000000A570: D1000036 00C26932
	v_cmp_u_f32_e64 s[48:49], v209, v209                       // 00000000A578: D0480030 0003A3D1
	v_add3_u32 v50, v209, v53, 1                               // 00000000A580: D1FF0032 02066BD1
	v_cndmask_b32_e64 v55, v50, v52, s[48:49]                  // 00000000A588: D1000037 00C26932
	v_perm_b32 v200, v55, v54, s52                             // 00000000A590: D1ED00C8 00D26D37
	v_cmp_u_f32_e64 s[48:49], v210, v210                       // 00000000A598: D0480030 0003A5D2
	v_add3_u32 v50, v210, v53, 1                               // 00000000A5A0: D1FF0032 02066BD2
	v_cndmask_b32_e64 v54, v50, v52, s[48:49]                  // 00000000A5A8: D1000036 00C26932
	v_cmp_u_f32_e64 s[48:49], v211, v211                       // 00000000A5B0: D0480030 0003A7D3
	v_add3_u32 v50, v211, v53, 1                               // 00000000A5B8: D1FF0032 02066BD3
	v_cndmask_b32_e64 v55, v50, v52, s[48:49]                  // 00000000A5C0: D1000037 00C26932
	v_perm_b32 v201, v55, v54, s52                             // 00000000A5C8: D1ED00C9 00D26D37
	v_cmp_u_f32_e64 s[48:49], v212, v212                       // 00000000A5D0: D0480030 0003A9D4
	v_add3_u32 v50, v212, v53, 1                               // 00000000A5D8: D1FF0032 02066BD4
	v_cndmask_b32_e64 v54, v50, v52, s[48:49]                  // 00000000A5E0: D1000036 00C26932
	v_cmp_u_f32_e64 s[48:49], v213, v213                       // 00000000A5E8: D0480030 0003ABD5
	v_add3_u32 v50, v213, v53, 1                               // 00000000A5F0: D1FF0032 02066BD5
	v_cndmask_b32_e64 v55, v50, v52, s[48:49]                  // 00000000A5F8: D1000037 00C26932
	v_perm_b32 v202, v55, v54, s52                             // 00000000A600: D1ED00CA 00D26D37
	v_cmp_u_f32_e64 s[48:49], v214, v214                       // 00000000A608: D0480030 0003ADD6
	v_add3_u32 v50, v214, v53, 1                               // 00000000A610: D1FF0032 02066BD6
	v_cndmask_b32_e64 v54, v50, v52, s[48:49]                  // 00000000A618: D1000036 00C26932
	v_cmp_u_f32_e64 s[48:49], v215, v215                       // 00000000A620: D0480030 0003AFD7
	v_add3_u32 v50, v215, v53, 1                               // 00000000A628: D1FF0032 02066BD7
	v_cndmask_b32_e64 v55, v50, v52, s[48:49]                  // 00000000A630: D1000037 00C26932
	v_perm_b32 v203, v55, v54, s52                             // 00000000A638: D1ED00CB 00D26D37
	v_cmp_u_f32_e64 s[48:49], v216, v216                       // 00000000A640: D0480030 0003B1D8
	v_add3_u32 v50, v216, v53, 1                               // 00000000A648: D1FF0032 02066BD8
	v_cndmask_b32_e64 v54, v50, v52, s[48:49]                  // 00000000A650: D1000036 00C26932
	v_cmp_u_f32_e64 s[48:49], v217, v217                       // 00000000A658: D0480030 0003B3D9
	v_add3_u32 v50, v217, v53, 1                               // 00000000A660: D1FF0032 02066BD9
	v_cndmask_b32_e64 v55, v50, v52, s[48:49]                  // 00000000A668: D1000037 00C26932
	v_perm_b32 v204, v55, v54, s52                             // 00000000A670: D1ED00CC 00D26D37
	v_cmp_u_f32_e64 s[48:49], v218, v218                       // 00000000A678: D0480030 0003B5DA
	v_add3_u32 v50, v218, v53, 1                               // 00000000A680: D1FF0032 02066BDA
	v_cndmask_b32_e64 v54, v50, v52, s[48:49]                  // 00000000A688: D1000036 00C26932
	v_cmp_u_f32_e64 s[48:49], v219, v219                       // 00000000A690: D0480030 0003B7DB
	v_add3_u32 v50, v219, v53, 1                               // 00000000A698: D1FF0032 02066BDB
	v_cndmask_b32_e64 v55, v50, v52, s[48:49]                  // 00000000A6A0: D1000037 00C26932
	v_perm_b32 v205, v55, v54, s52                             // 00000000A6A8: D1ED00CD 00D26D37
	v_cmp_u_f32_e64 s[48:49], v220, v220                       // 00000000A6B0: D0480030 0003B9DC
	v_add3_u32 v50, v220, v53, 1                               // 00000000A6B8: D1FF0032 02066BDC
	v_cndmask_b32_e64 v54, v50, v52, s[48:49]                  // 00000000A6C0: D1000036 00C26932
	v_cmp_u_f32_e64 s[48:49], v221, v221                       // 00000000A6C8: D0480030 0003BBDD
	v_add3_u32 v50, v221, v53, 1                               // 00000000A6D0: D1FF0032 02066BDD
	v_cndmask_b32_e64 v55, v50, v52, s[48:49]                  // 00000000A6D8: D1000037 00C26932
	v_perm_b32 v206, v55, v54, s52                             // 00000000A6E0: D1ED00CE 00D26D37
	v_cmp_u_f32_e64 s[48:49], v222, v222                       // 00000000A6E8: D0480030 0003BDDE
	v_add3_u32 v50, v222, v53, 1                               // 00000000A6F0: D1FF0032 02066BDE
	v_cndmask_b32_e64 v54, v50, v52, s[48:49]                  // 00000000A6F8: D1000036 00C26932
	v_cmp_u_f32_e64 s[48:49], v223, v223                       // 00000000A700: D0480030 0003BFDF
	v_add3_u32 v50, v223, v53, 1                               // 00000000A708: D1FF0032 02066BDF
	v_cndmask_b32_e64 v55, v50, v52, s[48:49]                  // 00000000A710: D1000037 00C26932
	v_perm_b32 v207, v55, v54, s52                             // 00000000A718: D1ED00CF 00D26D37
	s_setvskip s20, 0                                          // 00000000A720: BF108014
	global_atomic_pk_add_bf16 v80, v64, s[8:9]                 // 00000000A724: DD488000 00084050
	s_setvskip 0, 0                                            // 00000000A72C: BF108080
	s_setvskip s20, 0                                          // 00000000A730: BF108014
	global_atomic_pk_add_bf16 v80, v65, s[8:9] offset:256      // 00000000A734: DD488100 00084150
	s_setvskip 0, 0                                            // 00000000A73C: BF108080
	s_setvskip s20, 1                                          // 00000000A740: BF108114
	global_atomic_pk_add_bf16 v82, v66, s[8:9]                 // 00000000A744: DD488000 00084252
	s_setvskip 0, 0                                            // 00000000A74C: BF108080
	s_setvskip s20, 1                                          // 00000000A750: BF108114
	global_atomic_pk_add_bf16 v82, v67, s[8:9] offset:256      // 00000000A754: DD488100 00084352
	s_setvskip 0, 0                                            // 00000000A75C: BF108080
	s_setvskip s20, 2                                          // 00000000A760: BF108214
	global_atomic_pk_add_bf16 v84, v68, s[8:9]                 // 00000000A764: DD488000 00084454
	s_setvskip 0, 0                                            // 00000000A76C: BF108080
	s_setvskip s20, 2                                          // 00000000A770: BF108214
	global_atomic_pk_add_bf16 v84, v69, s[8:9] offset:256      // 00000000A774: DD488100 00084554
	s_setvskip 0, 0                                            // 00000000A77C: BF108080
	s_setvskip s20, 3                                          // 00000000A780: BF108314
	global_atomic_pk_add_bf16 v86, v70, s[8:9]                 // 00000000A784: DD488000 00084656
	s_setvskip 0, 0                                            // 00000000A78C: BF108080
	s_setvskip s20, 3                                          // 00000000A790: BF108314
	global_atomic_pk_add_bf16 v86, v71, s[8:9] offset:256      // 00000000A794: DD488100 00084756
	s_setvskip 0, 0                                            // 00000000A79C: BF108080
	s_setvskip s20, 4                                          // 00000000A7A0: BF108414
	global_atomic_pk_add_bf16 v88, v72, s[8:9]                 // 00000000A7A4: DD488000 00084858
	s_setvskip 0, 0                                            // 00000000A7AC: BF108080
	s_setvskip s20, 4                                          // 00000000A7B0: BF108414
	global_atomic_pk_add_bf16 v88, v73, s[8:9] offset:256      // 00000000A7B4: DD488100 00084958
	s_setvskip 0, 0                                            // 00000000A7BC: BF108080
	s_setvskip s20, 5                                          // 00000000A7C0: BF108514
	global_atomic_pk_add_bf16 v90, v74, s[8:9]                 // 00000000A7C4: DD488000 00084A5A
	s_setvskip 0, 0                                            // 00000000A7CC: BF108080
	s_setvskip s20, 5                                          // 00000000A7D0: BF108514
	global_atomic_pk_add_bf16 v90, v75, s[8:9] offset:256      // 00000000A7D4: DD488100 00084B5A
	s_setvskip 0, 0                                            // 00000000A7DC: BF108080
	s_setvskip s20, 6                                          // 00000000A7E0: BF108614
	global_atomic_pk_add_bf16 v92, v76, s[8:9]                 // 00000000A7E4: DD488000 00084C5C
	s_setvskip 0, 0                                            // 00000000A7EC: BF108080
	s_setvskip s20, 6                                          // 00000000A7F0: BF108614
	global_atomic_pk_add_bf16 v92, v77, s[8:9] offset:256      // 00000000A7F4: DD488100 00084D5C
	s_setvskip 0, 0                                            // 00000000A7FC: BF108080
	s_setvskip s20, 7                                          // 00000000A800: BF108714
	global_atomic_pk_add_bf16 v94, v78, s[8:9]                 // 00000000A804: DD488000 00084E5E
	s_setvskip 0, 0                                            // 00000000A80C: BF108080
	s_setvskip s20, 7                                          // 00000000A810: BF108714
	global_atomic_pk_add_bf16 v94, v79, s[8:9] offset:256      // 00000000A814: DD488100 00084F5E
	s_setvskip 0, 0                                            // 00000000A81C: BF108080
	s_cmp_ge_u32 s80, 0x200                                    // 00000000A820: BF09FF50 00000200
	s_cselect_b32 s59, 0x200, s59                              // 00000000A828: 853B3BFF 00000200
	s_add_u32 s8, s59, s8                                      // 00000000A830: 8008083B
	s_addc_u32 s9, 0, s9                                       // 00000000A834: 82090980
	s_addk_i32 s80, 0x100                                      // 00000000A838: B7500100
	s_cmp_lt_i32 s80, s81                                      // 00000000A83C: BF045150
	s_cbranch_scc0 label_126E                                  // 00000000A840: BF84F3DD
	s_waitcnt vmcnt(25) lgkmcnt(0)                             // 00000000A844: BF8C4079
	s_barrier                                                  // 00000000A848: BF8A0000
	v_mfma_i32_16x16x32_i8 v[224:227], a[128:129], v[128:129], 0// 00000000A84C: D3D700E0 0A030180
	buffer_load_dwordx4 a[0:3], v42, s[12:15], 0 offen         // 00000000A854: E05C1000 8083002A
	v_mfma_i32_16x16x32_i8 v[224:227], a[130:131], v[130:131], v[224:227]// 00000000A85C: D3D700E0 0F830582
	ds_read_b32 v64, v4 offset:36096                           // 00000000A864: D86C8D00 40000004
	ds_read_b32 v65, v4 offset:40448                           // 00000000A86C: D86C9E00 41000004
	v_mfma_i32_16x16x32_i8 v[224:227], a[132:133], v[132:133], v[224:227]// 00000000A874: D3D700E0 0F830984
	v_mfma_i32_16x16x32_i8 v[224:227], a[134:135], v[134:135], v[224:227]// 00000000A87C: D3D700E0 0F830D86
	ds_read_b32 v66, v4 offset:36128                           // 00000000A884: D86C8D20 42000004
	ds_read_b32 v67, v4 offset:40480                           // 00000000A88C: D86C9E20 43000004
	v_mfma_i32_16x16x32_i8 v[224:227], a[136:137], v[136:137], v[224:227]// 00000000A894: D3D700E0 0F831188
	buffer_load_dwordx4 a[4:7], v42, s[12:15], 0 offen offset:1024// 00000000A89C: E05C1400 8083042A
	v_mfma_i32_16x16x32_i8 v[224:227], a[138:139], v[138:139], v[224:227]// 00000000A8A4: D3D700E0 0F83158A
	ds_read_b32 v68, v4 offset:36160                           // 00000000A8AC: D86C8D40 44000004
	ds_read_b32 v69, v4 offset:40512                           // 00000000A8B4: D86C9E40 45000004
	v_mfma_i32_16x16x32_i8 v[224:227], a[140:141], v[140:141], v[224:227]// 00000000A8BC: D3D700E0 0F83198C
	v_mfma_i32_16x16x32_i8 v[224:227], a[142:143], v[142:143], v[224:227]// 00000000A8C4: D3D700E0 0F831D8E
	ds_read_b32 v70, v4 offset:36192                           // 00000000A8CC: D86C8D60 46000004
	ds_read_b32 v71, v4 offset:40544                           // 00000000A8D4: D86C9E60 47000004
	v_mfma_i32_16x16x32_i8 v[228:231], a[128:129], v[160:161], 0// 00000000A8DC: D3D700E4 0A034180
	buffer_load_dwordx4 a[8:11], v42, s[12:15], 0 offen offset:2048// 00000000A8E4: E05C1800 8083082A
	v_mfma_i32_16x16x32_i8 v[228:231], a[130:131], v[162:163], v[228:231]// 00000000A8EC: D3D700E4 0F934582
	ds_read_b32 v72, v4 offset:44800                           // 00000000A8F4: D86CAF00 48000004
	ds_read_b32 v73, v4 offset:49152                           // 00000000A8FC: D86CC000 49000004
	v_mfma_i32_16x16x32_i8 v[228:231], a[132:133], v[164:165], v[228:231]// 00000000A904: D3D700E4 0F934984
	v_mfma_i32_16x16x32_i8 v[228:231], a[134:135], v[166:167], v[228:231]// 00000000A90C: D3D700E4 0F934D86
	ds_read_b32 v74, v4 offset:44832                           // 00000000A914: D86CAF20 4A000004
	ds_read_b32 v75, v4 offset:49184                           // 00000000A91C: D86CC020 4B000004
	v_mfma_i32_16x16x32_i8 v[228:231], a[136:137], v[168:169], v[228:231]// 00000000A924: D3D700E4 0F935188
	buffer_load_dwordx4 a[12:15], v42, s[12:15], 0 offen offset:3072// 00000000A92C: E05C1C00 80830C2A
	v_mfma_i32_16x16x32_i8 v[228:231], a[138:139], v[170:171], v[228:231]// 00000000A934: D3D700E4 0F93558A
	ds_read_b32 v76, v4 offset:44864                           // 00000000A93C: D86CAF40 4C000004
	ds_read_b32 v77, v4 offset:49216                           // 00000000A944: D86CC040 4D000004
	v_mfma_i32_16x16x32_i8 v[228:231], a[140:141], v[172:173], v[228:231]// 00000000A94C: D3D700E4 0F93598C
	v_mfma_i32_16x16x32_i8 v[228:231], a[142:143], v[174:175], v[228:231]// 00000000A954: D3D700E4 0F935D8E
	ds_read_b32 v78, v4 offset:44896                           // 00000000A95C: D86CAF60 4E000004
	ds_read_b32 v79, v4 offset:49248                           // 00000000A964: D86CC060 4F000004
	v_mfma_i32_16x16x32_i8 v[232:235], a[144:145], v[128:129], 0// 00000000A96C: D3D700E8 0A030190
	buffer_load_dwordx4 a[16:19], v43, s[12:15], 0 offen       // 00000000A974: E05C1000 8083102B
	v_mfma_i32_16x16x32_i8 v[232:235], a[146:147], v[130:131], v[232:235]// 00000000A97C: D3D700E8 0FA30592
	v_mfma_i32_16x16x32_i8 v[232:235], a[148:149], v[132:133], v[232:235]// 00000000A984: D3D700E8 0FA30994
	v_mfma_i32_16x16x32_i8 v[232:235], a[150:151], v[134:135], v[232:235]// 00000000A98C: D3D700E8 0FA30D96
	v_mfma_i32_16x16x32_i8 v[232:235], a[152:153], v[136:137], v[232:235]// 00000000A994: D3D700E8 0FA31198
	buffer_load_dwordx4 a[20:23], v43, s[12:15], 0 offen offset:1024// 00000000A99C: E05C1400 8083142B
	v_mfma_i32_16x16x32_i8 v[232:235], a[154:155], v[138:139], v[232:235]// 00000000A9A4: D3D700E8 0FA3159A
	v_mfma_i32_16x16x32_i8 v[232:235], a[156:157], v[140:141], v[232:235]// 00000000A9AC: D3D700E8 0FA3199C
	v_mfma_i32_16x16x32_i8 v[232:235], a[158:159], v[142:143], v[232:235]// 00000000A9B4: D3D700E8 0FA31D9E
	v_mfma_i32_16x16x32_i8 v[236:239], a[144:145], v[160:161], 0// 00000000A9BC: D3D700EC 0A034190
	buffer_load_dwordx4 a[24:27], v43, s[12:15], 0 offen offset:2048// 00000000A9C4: E05C1800 8083182B
	v_mfma_i32_16x16x32_i8 v[236:239], a[146:147], v[162:163], v[236:239]// 00000000A9CC: D3D700EC 0FB34592
	v_mfma_i32_16x16x32_i8 v[236:239], a[148:149], v[164:165], v[236:239]// 00000000A9D4: D3D700EC 0FB34994
	v_mfma_i32_16x16x32_i8 v[236:239], a[150:151], v[166:167], v[236:239]// 00000000A9DC: D3D700EC 0FB34D96
	v_mfma_i32_16x16x32_i8 v[236:239], a[152:153], v[168:169], v[236:239]// 00000000A9E4: D3D700EC 0FB35198
	buffer_load_dwordx4 a[28:31], v43, s[12:15], 0 offen offset:3072// 00000000A9EC: E05C1C00 80831C2B
	v_mfma_i32_16x16x32_i8 v[236:239], a[154:155], v[170:171], v[236:239]// 00000000A9F4: D3D700EC 0FB3559A
	v_mfma_i32_16x16x32_i8 v[236:239], a[156:157], v[172:173], v[236:239]// 00000000A9FC: D3D700EC 0FB3599C
	v_mfma_i32_16x16x32_i8 v[236:239], a[158:159], v[174:175], v[236:239]// 00000000AA04: D3D700EC 0FB35D9E
	s_waitcnt vmcnt(25)                                        // 00000000AA0C: BF8C4F79
	v_mfma_i32_16x16x32_i8 v[240:243], a[160:161], v[128:129], 0// 00000000AA10: D3D700F0 0A0301A0
	buffer_load_dwordx4 a[32:35], v44, s[12:15], 0 offen       // 00000000AA18: E05C1000 8083202C
	v_mfma_i32_16x16x32_i8 v[240:243], a[162:163], v[130:131], v[240:243]// 00000000AA20: D3D700F0 0FC305A2
	v_mfma_i32_16x16x32_i8 v[240:243], a[164:165], v[132:133], v[240:243]// 00000000AA28: D3D700F0 0FC309A4
	v_mfma_i32_16x16x32_i8 v[240:243], a[166:167], v[134:135], v[240:243]// 00000000AA30: D3D700F0 0FC30DA6
	v_mfma_i32_16x16x32_i8 v[240:243], a[168:169], v[136:137], v[240:243]// 00000000AA38: D3D700F0 0FC311A8
	buffer_load_dwordx4 a[36:39], v44, s[12:15], 0 offen offset:1024// 00000000AA40: E05C1400 8083242C
	v_mfma_i32_16x16x32_i8 v[240:243], a[170:171], v[138:139], v[240:243]// 00000000AA48: D3D700F0 0FC315AA
	v_mfma_i32_16x16x32_i8 v[240:243], a[172:173], v[140:141], v[240:243]// 00000000AA50: D3D700F0 0FC319AC
	v_mfma_i32_16x16x32_i8 v[240:243], a[174:175], v[142:143], v[240:243]// 00000000AA58: D3D700F0 0FC31DAE
	v_mfma_i32_16x16x32_i8 v[244:247], a[160:161], v[160:161], 0// 00000000AA60: D3D700F4 0A0341A0
	buffer_load_dwordx4 a[40:43], v44, s[12:15], 0 offen offset:2048// 00000000AA68: E05C1800 8083282C
	v_mfma_i32_16x16x32_i8 v[244:247], a[162:163], v[162:163], v[244:247]// 00000000AA70: D3D700F4 0FD345A2
	v_mfma_i32_16x16x32_i8 v[244:247], a[164:165], v[164:165], v[244:247]// 00000000AA78: D3D700F4 0FD349A4
	v_mfma_i32_16x16x32_i8 v[244:247], a[166:167], v[166:167], v[244:247]// 00000000AA80: D3D700F4 0FD34DA6
	v_mfma_i32_16x16x32_i8 v[244:247], a[168:169], v[168:169], v[244:247]// 00000000AA88: D3D700F4 0FD351A8
	buffer_load_dwordx4 a[44:47], v44, s[12:15], 0 offen offset:3072// 00000000AA90: E05C1C00 80832C2C
	v_mfma_i32_16x16x32_i8 v[244:247], a[170:171], v[170:171], v[244:247]// 00000000AA98: D3D700F4 0FD355AA
	v_mfma_i32_16x16x32_i8 v[244:247], a[172:173], v[172:173], v[244:247]// 00000000AAA0: D3D700F4 0FD359AC
	v_mfma_i32_16x16x32_i8 v[244:247], a[174:175], v[174:175], v[244:247]// 00000000AAA8: D3D700F4 0FD35DAE
	v_mfma_i32_16x16x32_i8 v[248:251], a[176:177], v[128:129], 0// 00000000AAB0: D3D700F8 0A0301B0
	buffer_load_dwordx4 a[48:51], v45, s[12:15], 0 offen       // 00000000AAB8: E05C1000 8083302D
	v_mfma_i32_16x16x32_i8 v[248:251], a[178:179], v[130:131], v[248:251]// 00000000AAC0: D3D700F8 0FE305B2
	v_mfma_i32_16x16x32_i8 v[248:251], a[180:181], v[132:133], v[248:251]// 00000000AAC8: D3D700F8 0FE309B4
	v_mfma_i32_16x16x32_i8 v[248:251], a[182:183], v[134:135], v[248:251]// 00000000AAD0: D3D700F8 0FE30DB6
	v_mfma_i32_16x16x32_i8 v[248:251], a[184:185], v[136:137], v[248:251]// 00000000AAD8: D3D700F8 0FE311B8
	buffer_load_dwordx4 a[52:55], v45, s[12:15], 0 offen offset:1024// 00000000AAE0: E05C1400 8083342D
	v_mfma_i32_16x16x32_i8 v[248:251], a[186:187], v[138:139], v[248:251]// 00000000AAE8: D3D700F8 0FE315BA
	v_mfma_i32_16x16x32_i8 v[248:251], a[188:189], v[140:141], v[248:251]// 00000000AAF0: D3D700F8 0FE319BC
	v_mfma_i32_16x16x32_i8 v[248:251], a[190:191], v[142:143], v[248:251]// 00000000AAF8: D3D700F8 0FE31DBE
	v_mfma_i32_16x16x32_i8 v[252:255], a[176:177], v[160:161], 0// 00000000AB00: D3D700FC 0A0341B0
	buffer_load_dwordx4 a[56:59], v45, s[12:15], 0 offen offset:2048// 00000000AB08: E05C1800 8083382D
	v_mfma_i32_16x16x32_i8 v[252:255], a[178:179], v[162:163], v[252:255]// 00000000AB10: D3D700FC 0FF345B2
	v_mfma_i32_16x16x32_i8 v[252:255], a[180:181], v[164:165], v[252:255]// 00000000AB18: D3D700FC 0FF349B4
	v_mfma_i32_16x16x32_i8 v[252:255], a[182:183], v[166:167], v[252:255]// 00000000AB20: D3D700FC 0FF34DB6
	v_mfma_i32_16x16x32_i8 v[252:255], a[184:185], v[168:169], v[252:255]// 00000000AB28: D3D700FC 0FF351B8
	buffer_load_dwordx4 a[60:63], v45, s[12:15], 0 offen offset:3072// 00000000AB30: E05C1C00 80833C2D
	s_add_u32 s12, s78, s12                                    // 00000000AB38: 800C0C4E
	s_addc_u32 s13, 0, s13                                     // 00000000AB3C: 820D0D80
	v_mfma_i32_16x16x32_i8 v[252:255], a[186:187], v[170:171], v[252:255]// 00000000AB40: D3D700FC 0FF355BA
	v_mfma_i32_16x16x32_i8 v[252:255], a[188:189], v[172:173], v[252:255]// 00000000AB48: D3D700FC 0FF359BC
	v_mfma_i32_16x16x32_i8 v[252:255], a[190:191], v[174:175], v[252:255]// 00000000AB50: D3D700FC 0FF35DBE
	s_waitcnt vmcnt(25)                                        // 00000000AB58: BF8C4F79
	v_mfma_i32_16x16x32_i8 v[224:227], a[192:193], v[144:145], v[224:227]// 00000000AB5C: D3D700E0 0F8321C0
	buffer_load_dwordx4 a[64:67], v42, s[12:15], 0 offen       // 00000000AB64: E05C1000 8083402A
	v_mfma_i32_16x16x32_i8 v[224:227], a[194:195], v[146:147], v[224:227]// 00000000AB6C: D3D700E0 0F8325C2
	ds_write_b64 v3, v[192:193] offset:18688                   // 00000000AB74: D89A4900 0000C003
	v_mfma_i32_16x16x32_i8 v[224:227], a[196:197], v[148:149], v[224:227]// 00000000AB7C: D3D700E0 0F8329C4
	v_mfma_i32_16x16x32_i8 v[224:227], a[198:199], v[150:151], v[224:227]// 00000000AB84: D3D700E0 0F832DC6
	ds_write_b64 v3, v[194:195] offset:27392                   // 00000000AB8C: D89A6B00 0000C203
	v_mfma_i32_16x16x32_i8 v[224:227], a[200:201], v[152:153], v[224:227]// 00000000AB94: D3D700E0 0F8331C8
	buffer_load_dwordx4 a[68:71], v42, s[12:15], 0 offen offset:1024// 00000000AB9C: E05C1400 8083442A
	v_mfma_i32_16x16x32_i8 v[224:227], a[202:203], v[154:155], v[224:227]// 00000000ABA4: D3D700E0 0F8335CA
	ds_write_b64 v3, v[196:197] offset:20864                   // 00000000ABAC: D89A5180 0000C403
	v_mfma_i32_16x16x32_i8 v[224:227], a[204:205], v[156:157], v[224:227]// 00000000ABB4: D3D700E0 0F8339CC
	v_mfma_i32_16x16x32_i8 v[224:227], a[206:207], v[158:159], v[224:227]// 00000000ABBC: D3D700E0 0F833DCE
	ds_write_b64 v3, v[198:199] offset:29568                   // 00000000ABC4: D89A7380 0000C603
	v_mfma_i32_16x16x32_i8 v[228:231], a[192:193], v[176:177], v[228:231]// 00000000ABCC: D3D700E4 0F9361C0
	buffer_load_dwordx4 a[72:75], v42, s[12:15], 0 offen offset:2048// 00000000ABD4: E05C1800 8083482A
	v_mfma_i32_16x16x32_i8 v[228:231], a[194:195], v[178:179], v[228:231]// 00000000ABDC: D3D700E4 0F9365C2
	ds_write_b64 v3, v[200:201] offset:23040                   // 00000000ABE4: D89A5A00 0000C803
	v_mfma_i32_16x16x32_i8 v[228:231], a[196:197], v[180:181], v[228:231]// 00000000ABEC: D3D700E4 0F9369C4
	v_mfma_i32_16x16x32_i8 v[228:231], a[198:199], v[182:183], v[228:231]// 00000000ABF4: D3D700E4 0F936DC6
	ds_write_b64 v3, v[202:203] offset:31744                   // 00000000ABFC: D89A7C00 0000CA03
	v_mfma_i32_16x16x32_i8 v[228:231], a[200:201], v[184:185], v[228:231]// 00000000AC04: D3D700E4 0F9371C8
	buffer_load_dwordx4 a[76:79], v42, s[12:15], 0 offen offset:3072// 00000000AC0C: E05C1C00 80834C2A
	v_mfma_i32_16x16x32_i8 v[228:231], a[202:203], v[186:187], v[228:231]// 00000000AC14: D3D700E4 0F9375CA
	ds_write_b64 v3, v[204:205] offset:25216                   // 00000000AC1C: D89A6280 0000CC03
	v_mfma_i32_16x16x32_i8 v[228:231], a[204:205], v[188:189], v[228:231]// 00000000AC24: D3D700E4 0F9379CC
	v_mfma_i32_16x16x32_i8 v[228:231], a[206:207], v[190:191], v[228:231]// 00000000AC2C: D3D700E4 0F937DCE
	ds_write_b64 v3, v[206:207] offset:33920                   // 00000000AC34: D89A8480 0000CE03
	v_mfma_i32_16x16x32_i8 v[232:235], a[208:209], v[144:145], v[232:235]// 00000000AC3C: D3D700E8 0FA321D0
	buffer_load_dwordx4 a[80:83], v43, s[12:15], 0 offen       // 00000000AC44: E05C1000 8083502B
	v_mfma_i32_16x16x32_i8 v[232:235], a[210:211], v[146:147], v[232:235]// 00000000AC4C: D3D700E8 0FA325D2
	v_mfma_i32_16x16x32_i8 v[232:235], a[212:213], v[148:149], v[232:235]// 00000000AC54: D3D700E8 0FA329D4
	v_mfma_i32_16x16x32_i8 v[232:235], a[214:215], v[150:151], v[232:235]// 00000000AC5C: D3D700E8 0FA32DD6
	v_mfma_i32_16x16x32_i8 v[232:235], a[216:217], v[152:153], v[232:235]// 00000000AC64: D3D700E8 0FA331D8
	buffer_load_dwordx4 a[84:87], v43, s[12:15], 0 offen offset:1024// 00000000AC6C: E05C1400 8083542B
	v_mfma_i32_16x16x32_i8 v[232:235], a[218:219], v[154:155], v[232:235]// 00000000AC74: D3D700E8 0FA335DA
	v_mfma_i32_16x16x32_i8 v[232:235], a[220:221], v[156:157], v[232:235]// 00000000AC7C: D3D700E8 0FA339DC
	v_mfma_i32_16x16x32_i8 v[232:235], a[222:223], v[158:159], v[232:235]// 00000000AC84: D3D700E8 0FA33DDE
	v_mfma_i32_16x16x32_i8 v[236:239], a[208:209], v[176:177], v[236:239]// 00000000AC8C: D3D700EC 0FB361D0
	buffer_load_dwordx4 a[88:91], v43, s[12:15], 0 offen offset:2048// 00000000AC94: E05C1800 8083582B
	v_mfma_i32_16x16x32_i8 v[236:239], a[210:211], v[178:179], v[236:239]// 00000000AC9C: D3D700EC 0FB365D2
	v_mfma_i32_16x16x32_i8 v[236:239], a[212:213], v[180:181], v[236:239]// 00000000ACA4: D3D700EC 0FB369D4
	v_mfma_i32_16x16x32_i8 v[236:239], a[214:215], v[182:183], v[236:239]// 00000000ACAC: D3D700EC 0FB36DD6
	v_mfma_i32_16x16x32_i8 v[236:239], a[216:217], v[184:185], v[236:239]// 00000000ACB4: D3D700EC 0FB371D8
	buffer_load_dwordx4 a[92:95], v43, s[12:15], 0 offen offset:3072// 00000000ACBC: E05C1C00 80835C2B
	v_mfma_i32_16x16x32_i8 v[236:239], a[218:219], v[186:187], v[236:239]// 00000000ACC4: D3D700EC 0FB375DA
	v_mfma_i32_16x16x32_i8 v[236:239], a[220:221], v[188:189], v[236:239]// 00000000ACCC: D3D700EC 0FB379DC
	v_mfma_i32_16x16x32_i8 v[236:239], a[222:223], v[190:191], v[236:239]// 00000000ACD4: D3D700EC 0FB37DDE
	s_waitcnt vmcnt(24)                                        // 00000000ACDC: BF8C4F78
	v_mfma_i32_16x16x32_i8 v[240:243], a[224:225], v[144:145], v[240:243]// 00000000ACE0: D3D700F0 0FC321E0
	buffer_load_dwordx4 a[96:99], v44, s[12:15], 0 offen       // 00000000ACE8: E05C1000 8083602C
	v_mfma_i32_16x16x32_i8 v[240:243], a[226:227], v[146:147], v[240:243]// 00000000ACF0: D3D700F0 0FC325E2
	v_mfma_i32_16x16x32_i8 v[240:243], a[228:229], v[148:149], v[240:243]// 00000000ACF8: D3D700F0 0FC329E4
	buffer_load_dword v12, v5, s[16:19], 0 offen               // 00000000AD00: E0501000 80040C05
	v_mfma_i32_16x16x32_i8 v[240:243], a[230:231], v[150:151], v[240:243]// 00000000AD08: D3D700F0 0FC32DE6
	v_mfma_i32_16x16x32_i8 v[240:243], a[232:233], v[152:153], v[240:243]// 00000000AD10: D3D700F0 0FC331E8
	buffer_load_dwordx4 a[100:103], v44, s[12:15], 0 offen offset:1024// 00000000AD18: E05C1400 8083642C
	v_mfma_i32_16x16x32_i8 v[240:243], a[234:235], v[154:155], v[240:243]// 00000000AD20: D3D700F0 0FC335EA
	v_mfma_i32_16x16x32_i8 v[240:243], a[236:237], v[156:157], v[240:243]// 00000000AD28: D3D700F0 0FC339EC
	v_mfma_i32_16x16x32_i8 v[240:243], a[238:239], v[158:159], v[240:243]// 00000000AD30: D3D700F0 0FC33DEE
	v_mfma_i32_16x16x32_i8 v[244:247], a[224:225], v[176:177], v[244:247]// 00000000AD38: D3D700F4 0FD361E0
	buffer_load_dwordx4 a[104:107], v44, s[12:15], 0 offen offset:2048// 00000000AD40: E05C1800 8083682C
	v_mfma_i32_16x16x32_i8 v[244:247], a[226:227], v[178:179], v[244:247]// 00000000AD48: D3D700F4 0FD365E2
	v_mfma_i32_16x16x32_i8 v[244:247], a[228:229], v[180:181], v[244:247]// 00000000AD50: D3D700F4 0FD369E4
	s_add_u32 s60, 0x200, s80                                  // 00000000AD58: 803C50FF 00000200
	s_cmp_lt_u32 s60, s81                                      // 00000000AD60: BF0A513C
	v_mfma_i32_16x16x32_i8 v[244:247], a[230:231], v[182:183], v[244:247]// 00000000AD64: D3D700F4 0FD36DE6
	s_cselect_b32 s56, s56, 0                                  // 00000000AD6C: 85388038
	s_cselect_b32 s78, s78, 0                                  // 00000000AD70: 854E804E
	s_cselect_b32 s79, s79, 0                                  // 00000000AD74: 854F804F
	v_mfma_i32_16x16x32_i8 v[244:247], a[232:233], v[184:185], v[244:247]// 00000000AD78: D3D700F4 0FD371E8
	buffer_load_dwordx4 a[108:111], v44, s[12:15], 0 offen offset:3072// 00000000AD80: E05C1C00 80836C2C
	v_mfma_i32_16x16x32_i8 v[244:247], a[234:235], v[186:187], v[244:247]// 00000000AD88: D3D700F4 0FD375EA
	v_mfma_i32_16x16x32_i8 v[244:247], a[236:237], v[188:189], v[244:247]// 00000000AD90: D3D700F4 0FD379EC
	s_add_u32 s16, s79, s16                                    // 00000000AD98: 8010104F
	s_addc_u32 s17, 0, s17                                     // 00000000AD9C: 82111180
	v_mfma_i32_16x16x32_i8 v[244:247], a[238:239], v[190:191], v[244:247]// 00000000ADA0: D3D700F4 0FD37DEE
	v_mfma_i32_16x16x32_i8 v[248:251], a[240:241], v[144:145], v[248:251]// 00000000ADA8: D3D700F8 0FE321F0
	buffer_load_dwordx4 a[112:115], v45, s[12:15], 0 offen     // 00000000ADB0: E05C1000 8083702D
	v_mfma_i32_16x16x32_i8 v[248:251], a[242:243], v[146:147], v[248:251]// 00000000ADB8: D3D700F8 0FE325F2
	v_mfma_i32_16x16x32_i8 v[248:251], a[244:245], v[148:149], v[248:251]// 00000000ADC0: D3D700F8 0FE329F4
	v_mfma_i32_16x16x32_i8 v[248:251], a[246:247], v[150:151], v[248:251]// 00000000ADC8: D3D700F8 0FE32DF6
	v_mfma_i32_16x16x32_i8 v[248:251], a[248:249], v[152:153], v[248:251]// 00000000ADD0: D3D700F8 0FE331F8
	buffer_load_dwordx4 a[116:119], v45, s[12:15], 0 offen offset:1024// 00000000ADD8: E05C1400 8083742D
	v_mfma_i32_16x16x32_i8 v[248:251], a[250:251], v[154:155], v[248:251]// 00000000ADE0: D3D700F8 0FE335FA
	v_mfma_i32_16x16x32_i8 v[248:251], a[252:253], v[156:157], v[248:251]// 00000000ADE8: D3D700F8 0FE339FC
	v_mfma_i32_16x16x32_i8 v[248:251], a[254:255], v[158:159], v[248:251]// 00000000ADF0: D3D700F8 0FE33DFE
	v_mfma_i32_16x16x32_i8 v[252:255], a[240:241], v[176:177], v[252:255]// 00000000ADF8: D3D700FC 0FF361F0
	buffer_load_dwordx4 a[120:123], v45, s[12:15], 0 offen offset:2048// 00000000AE00: E05C1800 8083782D
	v_mfma_i32_16x16x32_i8 v[252:255], a[242:243], v[178:179], v[252:255]// 00000000AE08: D3D700FC 0FF365F2
	v_mfma_i32_16x16x32_i8 v[252:255], a[244:245], v[180:181], v[252:255]// 00000000AE10: D3D700FC 0FF369F4
	v_mfma_i32_16x16x32_i8 v[252:255], a[246:247], v[182:183], v[252:255]// 00000000AE18: D3D700FC 0FF36DF6
	v_mfma_i32_16x16x32_i8 v[252:255], a[248:249], v[184:185], v[252:255]// 00000000AE20: D3D700FC 0FF371F8
	buffer_load_dwordx4 a[124:127], v45, s[12:15], 0 offen offset:3072// 00000000AE28: E05C1C00 80837C2D
	v_mfma_i32_16x16x32_i8 v[252:255], a[250:251], v[186:187], v[252:255]// 00000000AE30: D3D700FC 0FF375FA
	v_mfma_i32_16x16x32_i8 v[252:255], a[252:253], v[188:189], v[252:255]// 00000000AE38: D3D700FC 0FF379FC
	s_add_u32 s12, s56, s12                                    // 00000000AE40: 800C0C38
	s_addc_u32 s13, 0, s13                                     // 00000000AE44: 820D0D80
	v_mfma_i32_16x16x32_i8 v[252:255], a[254:255], v[190:191], v[252:255]// 00000000AE48: D3D700FC 0FF37DFE
	v_mov_b32_e32 v96, v24                                     // 00000000AE50: 7EC00318
	v_mov_b32_e32 v100, v20                                    // 00000000AE54: 7EC80314
	v_mov_b32_e32 v97, v24                                     // 00000000AE58: 7EC20318
	v_mov_b32_e32 v101, v20                                    // 00000000AE5C: 7ECA0314
	v_mov_b32_e32 v98, v25                                     // 00000000AE60: 7EC40319
	v_mov_b32_e32 v102, v21                                    // 00000000AE64: 7ECC0315
	v_mov_b32_e32 v99, v25                                     // 00000000AE68: 7EC60319
	v_mov_b32_e32 v103, v21                                    // 00000000AE6C: 7ECE0315
	v_cvt_f32_i32_e32 v224, v224                               // 00000000AE70: 7FC00BE0
	v_cvt_f32_i32_e32 v225, v225                               // 00000000AE74: 7FC20BE1
	v_cvt_f32_i32_e32 v226, v226                               // 00000000AE78: 7FC40BE2
	v_cvt_f32_i32_e32 v227, v227                               // 00000000AE7C: 7FC60BE3
	v_pk_mul_f32 v[224:225], v[96:97], v[224:225]              // 00000000AE80: D3B140E0 1803C160
	v_pk_mul_f32 v[226:227], v[96:97], v[226:227]              // 00000000AE88: D3B140E2 1803C560
	v_mul_f32_dpp v224, v13, v224 row_newbcast:0 row_mask:0xf bank_mask:0xf// 00000000AE90: 0BC1C0FA FF01500D
	v_mul_f32_dpp v225, v13, v225 row_newbcast:1 row_mask:0xf bank_mask:0xf// 00000000AE98: 0BC3C2FA FF01510D
	v_mul_f32_dpp v226, v13, v226 row_newbcast:2 row_mask:0xf bank_mask:0xf// 00000000AEA0: 0BC5C4FA FF01520D
	v_mul_f32_dpp v227, v13, v227 row_newbcast:3 row_mask:0xf bank_mask:0xf// 00000000AEA8: 0BC7C6FA FF01530D
	v_pk_mul_f32 v[224:225], v[100:101], v[224:225]            // 00000000AEB0: D3B140E0 1803C164
	v_pk_mul_f32 v[226:227], v[100:101], v[226:227]            // 00000000AEB8: D3B140E2 1803C564
	v_cvt_f32_i32_e32 v228, v228                               // 00000000AEC0: 7FC80BE4
	v_cvt_f32_i32_e32 v229, v229                               // 00000000AEC4: 7FCA0BE5
	v_cvt_f32_i32_e32 v230, v230                               // 00000000AEC8: 7FCC0BE6
	v_cvt_f32_i32_e32 v231, v231                               // 00000000AECC: 7FCE0BE7
	v_pk_mul_f32 v[228:229], v[98:99], v[228:229]              // 00000000AED0: D3B140E4 1803C962
	v_pk_mul_f32 v[230:231], v[98:99], v[230:231]              // 00000000AED8: D3B140E6 1803CD62
	v_mul_f32_dpp v228, v13, v228 row_newbcast:0 row_mask:0xf bank_mask:0xf// 00000000AEE0: 0BC9C8FA FF01500D
	v_mul_f32_dpp v229, v13, v229 row_newbcast:1 row_mask:0xf bank_mask:0xf// 00000000AEE8: 0BCBCAFA FF01510D
	v_mul_f32_dpp v230, v13, v230 row_newbcast:2 row_mask:0xf bank_mask:0xf// 00000000AEF0: 0BCDCCFA FF01520D
	v_mul_f32_dpp v231, v13, v231 row_newbcast:3 row_mask:0xf bank_mask:0xf// 00000000AEF8: 0BCFCEFA FF01530D
	v_pk_mul_f32 v[228:229], v[102:103], v[228:229]            // 00000000AF00: D3B140E4 1803C966
	v_pk_mul_f32 v[230:231], v[102:103], v[230:231]            // 00000000AF08: D3B140E6 1803CD66
	v_cvt_f32_i32_e32 v232, v232                               // 00000000AF10: 7FD00BE8
	v_cvt_f32_i32_e32 v233, v233                               // 00000000AF14: 7FD20BE9
	v_cvt_f32_i32_e32 v234, v234                               // 00000000AF18: 7FD40BEA
	v_cvt_f32_i32_e32 v235, v235                               // 00000000AF1C: 7FD60BEB
	v_pk_mul_f32 v[232:233], v[96:97], v[232:233]              // 00000000AF20: D3B140E8 1803D160
	v_pk_mul_f32 v[234:235], v[96:97], v[234:235]              // 00000000AF28: D3B140EA 1803D560
	v_mul_f32_dpp v232, v13, v232 row_newbcast:4 row_mask:0xf bank_mask:0xf// 00000000AF30: 0BD1D0FA FF01540D
	v_mul_f32_dpp v233, v13, v233 row_newbcast:5 row_mask:0xf bank_mask:0xf// 00000000AF38: 0BD3D2FA FF01550D
	v_mul_f32_dpp v234, v13, v234 row_newbcast:6 row_mask:0xf bank_mask:0xf// 00000000AF40: 0BD5D4FA FF01560D
	v_mul_f32_dpp v235, v13, v235 row_newbcast:7 row_mask:0xf bank_mask:0xf// 00000000AF48: 0BD7D6FA FF01570D
	v_pk_mul_f32 v[232:233], v[100:101], v[232:233]            // 00000000AF50: D3B140E8 1803D164
	v_pk_mul_f32 v[234:235], v[100:101], v[234:235]            // 00000000AF58: D3B140EA 1803D564
	v_cvt_f32_i32_e32 v236, v236                               // 00000000AF60: 7FD80BEC
	v_cvt_f32_i32_e32 v237, v237                               // 00000000AF64: 7FDA0BED
	v_cvt_f32_i32_e32 v238, v238                               // 00000000AF68: 7FDC0BEE
	v_cvt_f32_i32_e32 v239, v239                               // 00000000AF6C: 7FDE0BEF
	v_pk_mul_f32 v[236:237], v[98:99], v[236:237]              // 00000000AF70: D3B140EC 1803D962
	v_pk_mul_f32 v[238:239], v[98:99], v[238:239]              // 00000000AF78: D3B140EE 1803DD62
	v_mul_f32_dpp v236, v13, v236 row_newbcast:4 row_mask:0xf bank_mask:0xf// 00000000AF80: 0BD9D8FA FF01540D
	v_mul_f32_dpp v237, v13, v237 row_newbcast:5 row_mask:0xf bank_mask:0xf// 00000000AF88: 0BDBDAFA FF01550D
	v_mul_f32_dpp v238, v13, v238 row_newbcast:6 row_mask:0xf bank_mask:0xf// 00000000AF90: 0BDDDCFA FF01560D
	v_mul_f32_dpp v239, v13, v239 row_newbcast:7 row_mask:0xf bank_mask:0xf// 00000000AF98: 0BDFDEFA FF01570D
	v_pk_mul_f32 v[236:237], v[102:103], v[236:237]            // 00000000AFA0: D3B140EC 1803D966
	v_pk_mul_f32 v[238:239], v[102:103], v[238:239]            // 00000000AFA8: D3B140EE 1803DD66
	v_cvt_f32_i32_e32 v240, v240                               // 00000000AFB0: 7FE00BF0
	v_cvt_f32_i32_e32 v241, v241                               // 00000000AFB4: 7FE20BF1
	v_cvt_f32_i32_e32 v242, v242                               // 00000000AFB8: 7FE40BF2
	v_cvt_f32_i32_e32 v243, v243                               // 00000000AFBC: 7FE60BF3
	v_pk_mul_f32 v[240:241], v[96:97], v[240:241]              // 00000000AFC0: D3B140F0 1803E160
	v_pk_mul_f32 v[242:243], v[96:97], v[242:243]              // 00000000AFC8: D3B140F2 1803E560
	v_mul_f32_dpp v240, v13, v240 row_newbcast:8 row_mask:0xf bank_mask:0xf// 00000000AFD0: 0BE1E0FA FF01580D
	v_mul_f32_dpp v241, v13, v241 row_newbcast:9 row_mask:0xf bank_mask:0xf// 00000000AFD8: 0BE3E2FA FF01590D
	v_mul_f32_dpp v242, v13, v242 row_newbcast:10 row_mask:0xf bank_mask:0xf// 00000000AFE0: 0BE5E4FA FF015A0D
	v_mul_f32_dpp v243, v13, v243 row_newbcast:11 row_mask:0xf bank_mask:0xf// 00000000AFE8: 0BE7E6FA FF015B0D
	v_pk_mul_f32 v[240:241], v[100:101], v[240:241]            // 00000000AFF0: D3B140F0 1803E164
	v_pk_mul_f32 v[242:243], v[100:101], v[242:243]            // 00000000AFF8: D3B140F2 1803E564
	v_cvt_f32_i32_e32 v244, v244                               // 00000000B000: 7FE80BF4
	v_cvt_f32_i32_e32 v245, v245                               // 00000000B004: 7FEA0BF5
	v_cvt_f32_i32_e32 v246, v246                               // 00000000B008: 7FEC0BF6
	v_cvt_f32_i32_e32 v247, v247                               // 00000000B00C: 7FEE0BF7
	v_pk_mul_f32 v[244:245], v[98:99], v[244:245]              // 00000000B010: D3B140F4 1803E962
	v_pk_mul_f32 v[246:247], v[98:99], v[246:247]              // 00000000B018: D3B140F6 1803ED62
	v_mul_f32_dpp v244, v13, v244 row_newbcast:8 row_mask:0xf bank_mask:0xf// 00000000B020: 0BE9E8FA FF01580D
	v_mul_f32_dpp v245, v13, v245 row_newbcast:9 row_mask:0xf bank_mask:0xf// 00000000B028: 0BEBEAFA FF01590D
	v_mul_f32_dpp v246, v13, v246 row_newbcast:10 row_mask:0xf bank_mask:0xf// 00000000B030: 0BEDECFA FF015A0D
	v_mul_f32_dpp v247, v13, v247 row_newbcast:11 row_mask:0xf bank_mask:0xf// 00000000B038: 0BEFEEFA FF015B0D
	v_pk_mul_f32 v[244:245], v[102:103], v[244:245]            // 00000000B040: D3B140F4 1803E966
	v_pk_mul_f32 v[246:247], v[102:103], v[246:247]            // 00000000B048: D3B140F6 1803ED66
	v_cvt_f32_i32_e32 v248, v248                               // 00000000B050: 7FF00BF8
	v_cvt_f32_i32_e32 v249, v249                               // 00000000B054: 7FF20BF9
	v_cvt_f32_i32_e32 v250, v250                               // 00000000B058: 7FF40BFA
	v_cvt_f32_i32_e32 v251, v251                               // 00000000B05C: 7FF60BFB
	v_pk_mul_f32 v[248:249], v[96:97], v[248:249]              // 00000000B060: D3B140F8 1803F160
	v_pk_mul_f32 v[250:251], v[96:97], v[250:251]              // 00000000B068: D3B140FA 1803F560
	v_mul_f32_dpp v248, v13, v248 row_newbcast:12 row_mask:0xf bank_mask:0xf// 00000000B070: 0BF1F0FA FF015C0D
	v_mul_f32_dpp v249, v13, v249 row_newbcast:13 row_mask:0xf bank_mask:0xf// 00000000B078: 0BF3F2FA FF015D0D
	v_mul_f32_dpp v250, v13, v250 row_newbcast:14 row_mask:0xf bank_mask:0xf// 00000000B080: 0BF5F4FA FF015E0D
	v_mul_f32_dpp v251, v13, v251 row_newbcast:15 row_mask:0xf bank_mask:0xf// 00000000B088: 0BF7F6FA FF015F0D
	v_pk_mul_f32 v[248:249], v[100:101], v[248:249]            // 00000000B090: D3B140F8 1803F164
	v_pk_mul_f32 v[250:251], v[100:101], v[250:251]            // 00000000B098: D3B140FA 1803F564
	v_cvt_f32_i32_e32 v252, v252                               // 00000000B0A0: 7FF80BFC
	v_cvt_f32_i32_e32 v253, v253                               // 00000000B0A4: 7FFA0BFD
	v_cvt_f32_i32_e32 v254, v254                               // 00000000B0A8: 7FFC0BFE
	v_cvt_f32_i32_e32 v255, v255                               // 00000000B0AC: 7FFE0BFF
	v_pk_mul_f32 v[252:253], v[98:99], v[252:253]              // 00000000B0B0: D3B140FC 1803F962
	v_pk_mul_f32 v[254:255], v[98:99], v[254:255]              // 00000000B0B8: D3B140FE 1803FD62
	v_mul_f32_dpp v252, v13, v252 row_newbcast:12 row_mask:0xf bank_mask:0xf// 00000000B0C0: 0BF9F8FA FF015C0D
	v_mul_f32_dpp v253, v13, v253 row_newbcast:13 row_mask:0xf bank_mask:0xf// 00000000B0C8: 0BFBFAFA FF015D0D
	v_mul_f32_dpp v254, v13, v254 row_newbcast:14 row_mask:0xf bank_mask:0xf// 00000000B0D0: 0BFDFCFA FF015E0D
	v_mul_f32_dpp v255, v13, v255 row_newbcast:15 row_mask:0xf bank_mask:0xf// 00000000B0D8: 0BFFFEFA FF015F0D
	v_pk_mul_f32 v[252:253], v[102:103], v[252:253]            // 00000000B0E0: D3B140FC 1803F966
	v_pk_mul_f32 v[254:255], v[102:103], v[254:255]            // 00000000B0E8: D3B140FE 1803FD66
	v_cmp_u_f32_e64 s[48:49], v224, v224                       // 00000000B0F0: D0480030 0003C1E0
	v_add3_u32 v50, v224, v53, 1                               // 00000000B0F8: D1FF0032 02066BE0
	v_cndmask_b32_e64 v54, v50, v52, s[48:49]                  // 00000000B100: D1000036 00C26932
	v_cmp_u_f32_e64 s[48:49], v225, v225                       // 00000000B108: D0480030 0003C3E1
	v_add3_u32 v50, v225, v53, 1                               // 00000000B110: D1FF0032 02066BE1
	v_cndmask_b32_e64 v55, v50, v52, s[48:49]                  // 00000000B118: D1000037 00C26932
	v_perm_b32 v224, v55, v54, s52                             // 00000000B120: D1ED00E0 00D26D37
	v_cmp_u_f32_e64 s[48:49], v226, v226                       // 00000000B128: D0480030 0003C5E2
	v_add3_u32 v50, v226, v53, 1                               // 00000000B130: D1FF0032 02066BE2
	v_cndmask_b32_e64 v54, v50, v52, s[48:49]                  // 00000000B138: D1000036 00C26932
	v_cmp_u_f32_e64 s[48:49], v227, v227                       // 00000000B140: D0480030 0003C7E3
	v_add3_u32 v50, v227, v53, 1                               // 00000000B148: D1FF0032 02066BE3
	v_cndmask_b32_e64 v55, v50, v52, s[48:49]                  // 00000000B150: D1000037 00C26932
	v_perm_b32 v225, v55, v54, s52                             // 00000000B158: D1ED00E1 00D26D37
	v_cmp_u_f32_e64 s[48:49], v228, v228                       // 00000000B160: D0480030 0003C9E4
	v_add3_u32 v50, v228, v53, 1                               // 00000000B168: D1FF0032 02066BE4
	v_cndmask_b32_e64 v54, v50, v52, s[48:49]                  // 00000000B170: D1000036 00C26932
	v_cmp_u_f32_e64 s[48:49], v229, v229                       // 00000000B178: D0480030 0003CBE5
	v_add3_u32 v50, v229, v53, 1                               // 00000000B180: D1FF0032 02066BE5
	v_cndmask_b32_e64 v55, v50, v52, s[48:49]                  // 00000000B188: D1000037 00C26932
	v_perm_b32 v226, v55, v54, s52                             // 00000000B190: D1ED00E2 00D26D37
	v_cmp_u_f32_e64 s[48:49], v230, v230                       // 00000000B198: D0480030 0003CDE6
	v_add3_u32 v50, v230, v53, 1                               // 00000000B1A0: D1FF0032 02066BE6
	v_cndmask_b32_e64 v54, v50, v52, s[48:49]                  // 00000000B1A8: D1000036 00C26932
	v_cmp_u_f32_e64 s[48:49], v231, v231                       // 00000000B1B0: D0480030 0003CFE7
	v_add3_u32 v50, v231, v53, 1                               // 00000000B1B8: D1FF0032 02066BE7
	v_cndmask_b32_e64 v55, v50, v52, s[48:49]                  // 00000000B1C0: D1000037 00C26932
	v_perm_b32 v227, v55, v54, s52                             // 00000000B1C8: D1ED00E3 00D26D37
	v_cmp_u_f32_e64 s[48:49], v232, v232                       // 00000000B1D0: D0480030 0003D1E8
	v_add3_u32 v50, v232, v53, 1                               // 00000000B1D8: D1FF0032 02066BE8
	v_cndmask_b32_e64 v54, v50, v52, s[48:49]                  // 00000000B1E0: D1000036 00C26932
	v_cmp_u_f32_e64 s[48:49], v233, v233                       // 00000000B1E8: D0480030 0003D3E9
	v_add3_u32 v50, v233, v53, 1                               // 00000000B1F0: D1FF0032 02066BE9
	v_cndmask_b32_e64 v55, v50, v52, s[48:49]                  // 00000000B1F8: D1000037 00C26932
	v_perm_b32 v228, v55, v54, s52                             // 00000000B200: D1ED00E4 00D26D37
	v_cmp_u_f32_e64 s[48:49], v234, v234                       // 00000000B208: D0480030 0003D5EA
	v_add3_u32 v50, v234, v53, 1                               // 00000000B210: D1FF0032 02066BEA
	v_cndmask_b32_e64 v54, v50, v52, s[48:49]                  // 00000000B218: D1000036 00C26932
	v_cmp_u_f32_e64 s[48:49], v235, v235                       // 00000000B220: D0480030 0003D7EB
	v_add3_u32 v50, v235, v53, 1                               // 00000000B228: D1FF0032 02066BEB
	v_cndmask_b32_e64 v55, v50, v52, s[48:49]                  // 00000000B230: D1000037 00C26932
	v_perm_b32 v229, v55, v54, s52                             // 00000000B238: D1ED00E5 00D26D37
	v_cmp_u_f32_e64 s[48:49], v236, v236                       // 00000000B240: D0480030 0003D9EC
	v_add3_u32 v50, v236, v53, 1                               // 00000000B248: D1FF0032 02066BEC
	v_cndmask_b32_e64 v54, v50, v52, s[48:49]                  // 00000000B250: D1000036 00C26932
	v_cmp_u_f32_e64 s[48:49], v237, v237                       // 00000000B258: D0480030 0003DBED
	v_add3_u32 v50, v237, v53, 1                               // 00000000B260: D1FF0032 02066BED
	v_cndmask_b32_e64 v55, v50, v52, s[48:49]                  // 00000000B268: D1000037 00C26932
	v_perm_b32 v230, v55, v54, s52                             // 00000000B270: D1ED00E6 00D26D37
	v_cmp_u_f32_e64 s[48:49], v238, v238                       // 00000000B278: D0480030 0003DDEE
	v_add3_u32 v50, v238, v53, 1                               // 00000000B280: D1FF0032 02066BEE
	v_cndmask_b32_e64 v54, v50, v52, s[48:49]                  // 00000000B288: D1000036 00C26932
	v_cmp_u_f32_e64 s[48:49], v239, v239                       // 00000000B290: D0480030 0003DFEF
	v_add3_u32 v50, v239, v53, 1                               // 00000000B298: D1FF0032 02066BEF
	v_cndmask_b32_e64 v55, v50, v52, s[48:49]                  // 00000000B2A0: D1000037 00C26932
	v_perm_b32 v231, v55, v54, s52                             // 00000000B2A8: D1ED00E7 00D26D37
	v_cmp_u_f32_e64 s[48:49], v240, v240                       // 00000000B2B0: D0480030 0003E1F0
	v_add3_u32 v50, v240, v53, 1                               // 00000000B2B8: D1FF0032 02066BF0
	v_cndmask_b32_e64 v54, v50, v52, s[48:49]                  // 00000000B2C0: D1000036 00C26932
	v_cmp_u_f32_e64 s[48:49], v241, v241                       // 00000000B2C8: D0480030 0003E3F1
	v_add3_u32 v50, v241, v53, 1                               // 00000000B2D0: D1FF0032 02066BF1
	v_cndmask_b32_e64 v55, v50, v52, s[48:49]                  // 00000000B2D8: D1000037 00C26932
	v_perm_b32 v232, v55, v54, s52                             // 00000000B2E0: D1ED00E8 00D26D37
	v_cmp_u_f32_e64 s[48:49], v242, v242                       // 00000000B2E8: D0480030 0003E5F2
	v_add3_u32 v50, v242, v53, 1                               // 00000000B2F0: D1FF0032 02066BF2
	v_cndmask_b32_e64 v54, v50, v52, s[48:49]                  // 00000000B2F8: D1000036 00C26932
	v_cmp_u_f32_e64 s[48:49], v243, v243                       // 00000000B300: D0480030 0003E7F3
	v_add3_u32 v50, v243, v53, 1                               // 00000000B308: D1FF0032 02066BF3
	v_cndmask_b32_e64 v55, v50, v52, s[48:49]                  // 00000000B310: D1000037 00C26932
	v_perm_b32 v233, v55, v54, s52                             // 00000000B318: D1ED00E9 00D26D37
	v_cmp_u_f32_e64 s[48:49], v244, v244                       // 00000000B320: D0480030 0003E9F4
	v_add3_u32 v50, v244, v53, 1                               // 00000000B328: D1FF0032 02066BF4
	v_cndmask_b32_e64 v54, v50, v52, s[48:49]                  // 00000000B330: D1000036 00C26932
	v_cmp_u_f32_e64 s[48:49], v245, v245                       // 00000000B338: D0480030 0003EBF5
	v_add3_u32 v50, v245, v53, 1                               // 00000000B340: D1FF0032 02066BF5
	v_cndmask_b32_e64 v55, v50, v52, s[48:49]                  // 00000000B348: D1000037 00C26932
	v_perm_b32 v234, v55, v54, s52                             // 00000000B350: D1ED00EA 00D26D37
	v_cmp_u_f32_e64 s[48:49], v246, v246                       // 00000000B358: D0480030 0003EDF6
	v_add3_u32 v50, v246, v53, 1                               // 00000000B360: D1FF0032 02066BF6
	v_cndmask_b32_e64 v54, v50, v52, s[48:49]                  // 00000000B368: D1000036 00C26932
	v_cmp_u_f32_e64 s[48:49], v247, v247                       // 00000000B370: D0480030 0003EFF7
	v_add3_u32 v50, v247, v53, 1                               // 00000000B378: D1FF0032 02066BF7
	v_cndmask_b32_e64 v55, v50, v52, s[48:49]                  // 00000000B380: D1000037 00C26932
	v_perm_b32 v235, v55, v54, s52                             // 00000000B388: D1ED00EB 00D26D37
	v_cmp_u_f32_e64 s[48:49], v248, v248                       // 00000000B390: D0480030 0003F1F8
	v_add3_u32 v50, v248, v53, 1                               // 00000000B398: D1FF0032 02066BF8
	v_cndmask_b32_e64 v54, v50, v52, s[48:49]                  // 00000000B3A0: D1000036 00C26932
	v_cmp_u_f32_e64 s[48:49], v249, v249                       // 00000000B3A8: D0480030 0003F3F9
	v_add3_u32 v50, v249, v53, 1                               // 00000000B3B0: D1FF0032 02066BF9
	v_cndmask_b32_e64 v55, v50, v52, s[48:49]                  // 00000000B3B8: D1000037 00C26932
	v_perm_b32 v236, v55, v54, s52                             // 00000000B3C0: D1ED00EC 00D26D37
	v_cmp_u_f32_e64 s[48:49], v250, v250                       // 00000000B3C8: D0480030 0003F5FA
	v_add3_u32 v50, v250, v53, 1                               // 00000000B3D0: D1FF0032 02066BFA
	v_cndmask_b32_e64 v54, v50, v52, s[48:49]                  // 00000000B3D8: D1000036 00C26932
	v_cmp_u_f32_e64 s[48:49], v251, v251                       // 00000000B3E0: D0480030 0003F7FB
	v_add3_u32 v50, v251, v53, 1                               // 00000000B3E8: D1FF0032 02066BFB
	v_cndmask_b32_e64 v55, v50, v52, s[48:49]                  // 00000000B3F0: D1000037 00C26932
	v_perm_b32 v237, v55, v54, s52                             // 00000000B3F8: D1ED00ED 00D26D37
	v_cmp_u_f32_e64 s[48:49], v252, v252                       // 00000000B400: D0480030 0003F9FC
	v_add3_u32 v50, v252, v53, 1                               // 00000000B408: D1FF0032 02066BFC
	v_cndmask_b32_e64 v54, v50, v52, s[48:49]                  // 00000000B410: D1000036 00C26932
	v_cmp_u_f32_e64 s[48:49], v253, v253                       // 00000000B418: D0480030 0003FBFD
	v_add3_u32 v50, v253, v53, 1                               // 00000000B420: D1FF0032 02066BFD
	v_cndmask_b32_e64 v55, v50, v52, s[48:49]                  // 00000000B428: D1000037 00C26932
	v_perm_b32 v238, v55, v54, s52                             // 00000000B430: D1ED00EE 00D26D37
	v_cmp_u_f32_e64 s[48:49], v254, v254                       // 00000000B438: D0480030 0003FDFE
	v_add3_u32 v50, v254, v53, 1                               // 00000000B440: D1FF0032 02066BFE
	v_cndmask_b32_e64 v54, v50, v52, s[48:49]                  // 00000000B448: D1000036 00C26932
	v_cmp_u_f32_e64 s[48:49], v255, v255                       // 00000000B450: D0480030 0003FFFF
	v_add3_u32 v50, v255, v53, 1                               // 00000000B458: D1FF0032 02066BFF
	v_cndmask_b32_e64 v55, v50, v52, s[48:49]                  // 00000000B460: D1000037 00C26932
	v_perm_b32 v239, v55, v54, s52                             // 00000000B468: D1ED00EF 00D26D37
	s_setvskip s20, 0                                          // 00000000B470: BF108014
	global_atomic_pk_add_bf16 v80, v64, s[8:9]                 // 00000000B474: DD488000 00084050
	s_setvskip 0, 0                                            // 00000000B47C: BF108080
	s_setvskip s20, 0                                          // 00000000B480: BF108014
	global_atomic_pk_add_bf16 v80, v65, s[8:9] offset:256      // 00000000B484: DD488100 00084150
	s_setvskip 0, 0                                            // 00000000B48C: BF108080
	s_setvskip s20, 1                                          // 00000000B490: BF108114
	global_atomic_pk_add_bf16 v82, v66, s[8:9]                 // 00000000B494: DD488000 00084252
	s_setvskip 0, 0                                            // 00000000B49C: BF108080
	s_setvskip s20, 1                                          // 00000000B4A0: BF108114
	global_atomic_pk_add_bf16 v82, v67, s[8:9] offset:256      // 00000000B4A4: DD488100 00084352
	s_setvskip 0, 0                                            // 00000000B4AC: BF108080
	s_setvskip s20, 2                                          // 00000000B4B0: BF108214
	global_atomic_pk_add_bf16 v84, v68, s[8:9]                 // 00000000B4B4: DD488000 00084454
	s_setvskip 0, 0                                            // 00000000B4BC: BF108080
	s_setvskip s20, 2                                          // 00000000B4C0: BF108214
	global_atomic_pk_add_bf16 v84, v69, s[8:9] offset:256      // 00000000B4C4: DD488100 00084554
	s_setvskip 0, 0                                            // 00000000B4CC: BF108080
	s_setvskip s20, 3                                          // 00000000B4D0: BF108314
	global_atomic_pk_add_bf16 v86, v70, s[8:9]                 // 00000000B4D4: DD488000 00084656
	s_setvskip 0, 0                                            // 00000000B4DC: BF108080
	s_setvskip s20, 3                                          // 00000000B4E0: BF108314
	global_atomic_pk_add_bf16 v86, v71, s[8:9] offset:256      // 00000000B4E4: DD488100 00084756
	s_setvskip 0, 0                                            // 00000000B4EC: BF108080
	s_setvskip s20, 4                                          // 00000000B4F0: BF108414
	global_atomic_pk_add_bf16 v88, v72, s[8:9]                 // 00000000B4F4: DD488000 00084858
	s_setvskip 0, 0                                            // 00000000B4FC: BF108080
	s_setvskip s20, 4                                          // 00000000B500: BF108414
	global_atomic_pk_add_bf16 v88, v73, s[8:9] offset:256      // 00000000B504: DD488100 00084958
	s_setvskip 0, 0                                            // 00000000B50C: BF108080
	s_setvskip s20, 5                                          // 00000000B510: BF108514
	global_atomic_pk_add_bf16 v90, v74, s[8:9]                 // 00000000B514: DD488000 00084A5A
	s_setvskip 0, 0                                            // 00000000B51C: BF108080
	s_setvskip s20, 5                                          // 00000000B520: BF108514
	global_atomic_pk_add_bf16 v90, v75, s[8:9] offset:256      // 00000000B524: DD488100 00084B5A
	s_setvskip 0, 0                                            // 00000000B52C: BF108080
	s_setvskip s20, 6                                          // 00000000B530: BF108614
	global_atomic_pk_add_bf16 v92, v76, s[8:9]                 // 00000000B534: DD488000 00084C5C
	s_setvskip 0, 0                                            // 00000000B53C: BF108080
	s_setvskip s20, 6                                          // 00000000B540: BF108614
	global_atomic_pk_add_bf16 v92, v77, s[8:9] offset:256      // 00000000B544: DD488100 00084D5C
	s_setvskip 0, 0                                            // 00000000B54C: BF108080
	s_setvskip s20, 7                                          // 00000000B550: BF108714
	global_atomic_pk_add_bf16 v94, v78, s[8:9]                 // 00000000B554: DD488000 00084E5E
	s_setvskip 0, 0                                            // 00000000B55C: BF108080
	s_setvskip s20, 7                                          // 00000000B560: BF108714
	global_atomic_pk_add_bf16 v94, v79, s[8:9] offset:256      // 00000000B564: DD488100 00084F5E
	s_setvskip 0, 0                                            // 00000000B56C: BF108080
	s_cmp_ge_u32 s80, 0x200                                    // 00000000B570: BF09FF50 00000200
	s_cselect_b32 s59, 0x200, s59                              // 00000000B578: 853B3BFF 00000200
	s_add_u32 s8, s59, s8                                      // 00000000B580: 8008083B
	s_addc_u32 s9, 0, s9                                       // 00000000B584: 82090980
	s_addk_i32 s80, 0x100                                      // 00000000B588: B7500100
	s_cmp_lt_i32 s80, s81                                      // 00000000B58C: BF045150
	s_cbranch_scc0 label_126E                                  // 00000000B590: BF84F089
	s_branch label_1B3D                                        // 00000000B594: BF82F957

000000000000b598 <label_21E6>:
	s_waitcnt lgkmcnt(0)                                       // 00000000B598: BF8CC07F
	s_barrier                                                  // 00000000B59C: BF8A0000
	ds_read_b32 v64, v4 offset:18688                           // 00000000B5A0: D86C4900 40000004
	ds_read_b32 v65, v4 offset:23040                           // 00000000B5A8: D86C5A00 41000004
	ds_read_b32 v66, v4 offset:18720                           // 00000000B5B0: D86C4920 42000004
	ds_read_b32 v67, v4 offset:23072                           // 00000000B5B8: D86C5A20 43000004
	ds_read_b32 v68, v4 offset:18752                           // 00000000B5C0: D86C4940 44000004
	ds_read_b32 v69, v4 offset:23104                           // 00000000B5C8: D86C5A40 45000004
	ds_read_b32 v70, v4 offset:18784                           // 00000000B5D0: D86C4960 46000004
	ds_read_b32 v71, v4 offset:23136                           // 00000000B5D8: D86C5A60 47000004
	ds_read_b32 v72, v4 offset:27392                           // 00000000B5E0: D86C6B00 48000004
	ds_read_b32 v73, v4 offset:31744                           // 00000000B5E8: D86C7C00 49000004
	ds_read_b32 v74, v4 offset:27424                           // 00000000B5F0: D86C6B20 4A000004
	ds_read_b32 v75, v4 offset:31776                           // 00000000B5F8: D86C7C20 4B000004
	ds_read_b32 v76, v4 offset:27456                           // 00000000B600: D86C6B40 4C000004
	ds_read_b32 v77, v4 offset:31808                           // 00000000B608: D86C7C40 4D000004
	ds_read_b32 v78, v4 offset:27488                           // 00000000B610: D86C6B60 4E000004
	ds_read_b32 v79, v4 offset:31840                           // 00000000B618: D86C7C60 4F000004
	s_waitcnt lgkmcnt(0)                                       // 00000000B620: BF8CC07F
	s_setvskip s20, 0                                          // 00000000B624: BF108014
	global_atomic_pk_add_bf16 v80, v64, s[8:9]                 // 00000000B628: DD488000 00084050
	s_setvskip 0, 0                                            // 00000000B630: BF108080
	s_setvskip s20, 0                                          // 00000000B634: BF108014
	global_atomic_pk_add_bf16 v80, v65, s[8:9] offset:256      // 00000000B638: DD488100 00084150
	s_setvskip 0, 0                                            // 00000000B640: BF108080
	s_setvskip s20, 1                                          // 00000000B644: BF108114
	global_atomic_pk_add_bf16 v82, v66, s[8:9]                 // 00000000B648: DD488000 00084252
	s_setvskip 0, 0                                            // 00000000B650: BF108080
	s_setvskip s20, 1                                          // 00000000B654: BF108114
	global_atomic_pk_add_bf16 v82, v67, s[8:9] offset:256      // 00000000B658: DD488100 00084352
	s_setvskip 0, 0                                            // 00000000B660: BF108080
	s_setvskip s20, 2                                          // 00000000B664: BF108214
	global_atomic_pk_add_bf16 v84, v68, s[8:9]                 // 00000000B668: DD488000 00084454
	s_setvskip 0, 0                                            // 00000000B670: BF108080
	s_setvskip s20, 2                                          // 00000000B674: BF108214
	global_atomic_pk_add_bf16 v84, v69, s[8:9] offset:256      // 00000000B678: DD488100 00084554
	s_setvskip 0, 0                                            // 00000000B680: BF108080
	s_setvskip s20, 3                                          // 00000000B684: BF108314
	global_atomic_pk_add_bf16 v86, v70, s[8:9]                 // 00000000B688: DD488000 00084656
	s_setvskip 0, 0                                            // 00000000B690: BF108080
	s_setvskip s20, 3                                          // 00000000B694: BF108314
	global_atomic_pk_add_bf16 v86, v71, s[8:9] offset:256      // 00000000B698: DD488100 00084756
	s_setvskip 0, 0                                            // 00000000B6A0: BF108080
	s_setvskip s20, 4                                          // 00000000B6A4: BF108414
	global_atomic_pk_add_bf16 v88, v72, s[8:9]                 // 00000000B6A8: DD488000 00084858
	s_setvskip 0, 0                                            // 00000000B6B0: BF108080
	s_setvskip s20, 4                                          // 00000000B6B4: BF108414
	global_atomic_pk_add_bf16 v88, v73, s[8:9] offset:256      // 00000000B6B8: DD488100 00084958
	s_setvskip 0, 0                                            // 00000000B6C0: BF108080
	s_setvskip s20, 5                                          // 00000000B6C4: BF108514
	global_atomic_pk_add_bf16 v90, v74, s[8:9]                 // 00000000B6C8: DD488000 00084A5A
	s_setvskip 0, 0                                            // 00000000B6D0: BF108080
	s_setvskip s20, 5                                          // 00000000B6D4: BF108514
	global_atomic_pk_add_bf16 v90, v75, s[8:9] offset:256      // 00000000B6D8: DD488100 00084B5A
	s_setvskip 0, 0                                            // 00000000B6E0: BF108080
	s_setvskip s20, 6                                          // 00000000B6E4: BF108614
	global_atomic_pk_add_bf16 v92, v76, s[8:9]                 // 00000000B6E8: DD488000 00084C5C
	s_setvskip 0, 0                                            // 00000000B6F0: BF108080
	s_setvskip s20, 6                                          // 00000000B6F4: BF108614
	global_atomic_pk_add_bf16 v92, v77, s[8:9] offset:256      // 00000000B6F8: DD488100 00084D5C
	s_setvskip 0, 0                                            // 00000000B700: BF108080
	s_setvskip s20, 7                                          // 00000000B704: BF108714
	global_atomic_pk_add_bf16 v94, v78, s[8:9]                 // 00000000B708: DD488000 00084E5E
	s_setvskip 0, 0                                            // 00000000B710: BF108080
	s_setvskip s20, 7                                          // 00000000B714: BF108714
	global_atomic_pk_add_bf16 v94, v79, s[8:9] offset:256      // 00000000B718: DD488100 00084F5E
	s_setvskip 0, 0                                            // 00000000B720: BF108080
	s_add_u32 s8, s59, s8                                      // 00000000B724: 8008083B
	s_addc_u32 s9, 0, s9                                       // 00000000B728: 82090980
	ds_write_b64 v3, v[224:225] offset:36096                   // 00000000B72C: D89A8D00 0000E003
	ds_write_b64 v3, v[226:227] offset:44800                   // 00000000B734: D89AAF00 0000E203
	ds_write_b64 v3, v[228:229] offset:38272                   // 00000000B73C: D89A9580 0000E403
	ds_write_b64 v3, v[230:231] offset:46976                   // 00000000B744: D89AB780 0000E603
	ds_write_b64 v3, v[232:233] offset:40448                   // 00000000B74C: D89A9E00 0000E803
	ds_write_b64 v3, v[234:235] offset:49152                   // 00000000B754: D89AC000 0000EA03
	ds_write_b64 v3, v[236:237] offset:42624                   // 00000000B75C: D89AA680 0000EC03
	ds_write_b64 v3, v[238:239] offset:51328                   // 00000000B764: D89AC880 0000EE03
	s_waitcnt lgkmcnt(0)                                       // 00000000B76C: BF8CC07F
	s_barrier                                                  // 00000000B770: BF8A0000
	ds_read_b32 v64, v4 offset:36096                           // 00000000B774: D86C8D00 40000004
	ds_read_b32 v65, v4 offset:40448                           // 00000000B77C: D86C9E00 41000004
	ds_read_b32 v66, v4 offset:36128                           // 00000000B784: D86C8D20 42000004
	ds_read_b32 v67, v4 offset:40480                           // 00000000B78C: D86C9E20 43000004
	ds_read_b32 v68, v4 offset:36160                           // 00000000B794: D86C8D40 44000004
	ds_read_b32 v69, v4 offset:40512                           // 00000000B79C: D86C9E40 45000004
	ds_read_b32 v70, v4 offset:36192                           // 00000000B7A4: D86C8D60 46000004
	ds_read_b32 v71, v4 offset:40544                           // 00000000B7AC: D86C9E60 47000004
	ds_read_b32 v72, v4 offset:44800                           // 00000000B7B4: D86CAF00 48000004
	ds_read_b32 v73, v4 offset:49152                           // 00000000B7BC: D86CC000 49000004
	ds_read_b32 v74, v4 offset:44832                           // 00000000B7C4: D86CAF20 4A000004
	ds_read_b32 v75, v4 offset:49184                           // 00000000B7CC: D86CC020 4B000004
	ds_read_b32 v76, v4 offset:44864                           // 00000000B7D4: D86CAF40 4C000004
	ds_read_b32 v77, v4 offset:49216                           // 00000000B7DC: D86CC040 4D000004
	ds_read_b32 v78, v4 offset:44896                           // 00000000B7E4: D86CAF60 4E000004
	ds_read_b32 v79, v4 offset:49248                           // 00000000B7EC: D86CC060 4F000004
	s_waitcnt lgkmcnt(0)                                       // 00000000B7F4: BF8CC07F
	s_setvskip s20, 0                                          // 00000000B7F8: BF108014
	global_atomic_pk_add_bf16 v80, v64, s[8:9]                 // 00000000B7FC: DD488000 00084050
	s_setvskip 0, 0                                            // 00000000B804: BF108080
	s_setvskip s20, 0                                          // 00000000B808: BF108014
	global_atomic_pk_add_bf16 v80, v65, s[8:9] offset:256      // 00000000B80C: DD488100 00084150
	s_setvskip 0, 0                                            // 00000000B814: BF108080
	s_setvskip s20, 1                                          // 00000000B818: BF108114
	global_atomic_pk_add_bf16 v82, v66, s[8:9]                 // 00000000B81C: DD488000 00084252
	s_setvskip 0, 0                                            // 00000000B824: BF108080
	s_setvskip s20, 1                                          // 00000000B828: BF108114
	global_atomic_pk_add_bf16 v82, v67, s[8:9] offset:256      // 00000000B82C: DD488100 00084352
	s_setvskip 0, 0                                            // 00000000B834: BF108080
	s_setvskip s20, 2                                          // 00000000B838: BF108214
	global_atomic_pk_add_bf16 v84, v68, s[8:9]                 // 00000000B83C: DD488000 00084454
	s_setvskip 0, 0                                            // 00000000B844: BF108080
	s_setvskip s20, 2                                          // 00000000B848: BF108214
	global_atomic_pk_add_bf16 v84, v69, s[8:9] offset:256      // 00000000B84C: DD488100 00084554
	s_setvskip 0, 0                                            // 00000000B854: BF108080
	s_setvskip s20, 3                                          // 00000000B858: BF108314
	global_atomic_pk_add_bf16 v86, v70, s[8:9]                 // 00000000B85C: DD488000 00084656
	s_setvskip 0, 0                                            // 00000000B864: BF108080
	s_setvskip s20, 3                                          // 00000000B868: BF108314
	global_atomic_pk_add_bf16 v86, v71, s[8:9] offset:256      // 00000000B86C: DD488100 00084756
	s_setvskip 0, 0                                            // 00000000B874: BF108080
	s_setvskip s20, 4                                          // 00000000B878: BF108414
	global_atomic_pk_add_bf16 v88, v72, s[8:9]                 // 00000000B87C: DD488000 00084858
	s_setvskip 0, 0                                            // 00000000B884: BF108080
	s_setvskip s20, 4                                          // 00000000B888: BF108414
	global_atomic_pk_add_bf16 v88, v73, s[8:9] offset:256      // 00000000B88C: DD488100 00084958
	s_setvskip 0, 0                                            // 00000000B894: BF108080
	s_setvskip s20, 5                                          // 00000000B898: BF108514
	global_atomic_pk_add_bf16 v90, v74, s[8:9]                 // 00000000B89C: DD488000 00084A5A
	s_setvskip 0, 0                                            // 00000000B8A4: BF108080
	s_setvskip s20, 5                                          // 00000000B8A8: BF108514
	global_atomic_pk_add_bf16 v90, v75, s[8:9] offset:256      // 00000000B8AC: DD488100 00084B5A
	s_setvskip 0, 0                                            // 00000000B8B4: BF108080
	s_setvskip s20, 6                                          // 00000000B8B8: BF108614
	global_atomic_pk_add_bf16 v92, v76, s[8:9]                 // 00000000B8BC: DD488000 00084C5C
	s_setvskip 0, 0                                            // 00000000B8C4: BF108080
	s_setvskip s20, 6                                          // 00000000B8C8: BF108614
	global_atomic_pk_add_bf16 v92, v77, s[8:9] offset:256      // 00000000B8CC: DD488100 00084D5C
	s_setvskip 0, 0                                            // 00000000B8D4: BF108080
	s_setvskip s20, 7                                          // 00000000B8D8: BF108714
	global_atomic_pk_add_bf16 v94, v78, s[8:9]                 // 00000000B8DC: DD488000 00084E5E
	s_setvskip 0, 0                                            // 00000000B8E4: BF108080
	s_setvskip s20, 7                                          // 00000000B8E8: BF108714
	global_atomic_pk_add_bf16 v94, v79, s[8:9] offset:256      // 00000000B8EC: DD488100 00084F5E
	s_setvskip 0, 0                                            // 00000000B8F4: BF108080
	s_waitcnt vmcnt(0) expcnt(0) lgkmcnt(0)                    // 00000000B8F8: BF8C0000
	s_add_u32 s100, s100, 1                                    // 00000000B8FC: 80648164
	s_cmp_eq_u32 s96, 0                                        // 00000000B900: BF068060
	s_cbranch_scc0 label_0039                                  // 00000000B904: BF84DD77

000000000000b908 <label_22C2>:
	s_waitcnt vmcnt(0) expcnt(0) lgkmcnt(0)                    // 00000000B908: BF8C0000
	s_endpgm                                                   // 00000000B90C: BF810000
